;; amdgpu-corpus repo=ROCm/rocFFT kind=compiled arch=gfx1030 opt=O3
	.text
	.amdgcn_target "amdgcn-amd-amdhsa--gfx1030"
	.amdhsa_code_object_version 6
	.protected	bluestein_single_back_len1701_dim1_half_op_CI_CI ; -- Begin function bluestein_single_back_len1701_dim1_half_op_CI_CI
	.globl	bluestein_single_back_len1701_dim1_half_op_CI_CI
	.p2align	8
	.type	bluestein_single_back_len1701_dim1_half_op_CI_CI,@function
bluestein_single_back_len1701_dim1_half_op_CI_CI: ; @bluestein_single_back_len1701_dim1_half_op_CI_CI
; %bb.0:
	s_load_dwordx4 s[8:11], s[4:5], 0x28
	v_mul_u32_u24_e32 v1, 0x411, v0
	v_mov_b32_e32 v17, 0
	s_mov_b32 s0, exec_lo
	v_lshrrev_b32_e32 v1, 16, v1
	v_add_nc_u32_e32 v16, s6, v1
	s_waitcnt lgkmcnt(0)
	v_cmpx_gt_u64_e64 s[8:9], v[16:17]
	s_cbranch_execz .LBB0_10
; %bb.1:
	s_clause 0x1
	s_load_dwordx4 s[0:3], s[4:5], 0x18
	s_load_dwordx4 s[12:15], s[4:5], 0x0
	v_mul_lo_u16 v1, v1, 63
	s_load_dwordx2 s[4:5], s[4:5], 0x38
	v_sub_nc_u16 v4, v0, v1
	v_and_b32_e32 v151, 0xffff, v4
	v_lshlrev_b32_e32 v125, 2, v151
	v_add_co_u32 v17, null, 0xbd, v151
	s_waitcnt lgkmcnt(0)
	s_load_dwordx4 s[16:19], s[0:1], 0x0
	v_add_co_u32 v5, s0, s12, v125
	v_add_co_ci_u32_e64 v6, null, s13, 0, s0
	global_load_dword v152, v125, s[12:13]
	v_add_nc_u32_e32 v102, 0x800, v125
	v_add_nc_u32_e32 v101, 0x1000, v125
	;; [unrolled: 1-line block ×12, first 2 shown]
	v_mul_u32_u24_e32 v46, 3, v17
	s_waitcnt lgkmcnt(0)
	v_mad_u64_u32 v[7:8], null, s18, v16, 0
	v_mad_u64_u32 v[9:10], null, s16, v151, 0
	s_mul_i32 s1, s17, 0x8dc
	s_mul_hi_u32 s7, s16, 0x8dc
	s_mul_i32 s0, s16, 0x8dc
	s_add_i32 s1, s7, s1
	v_mov_b32_e32 v0, v8
	s_mul_hi_u32 s9, s16, 0xffffef44
	v_mov_b32_e32 v1, v10
	s_mul_i32 s8, s17, 0xffffef44
	s_mul_i32 s6, s16, 0xffffef44
	s_sub_i32 s7, s9, s16
	v_lshlrev_b32_e32 v195, 2, v46
	v_mad_u64_u32 v[10:11], null, s19, v16, v[0:1]
	v_mad_u64_u32 v[11:12], null, s17, v151, v[1:2]
	v_add_co_u32 v2, vcc_lo, 0x800, v5
	v_add_co_ci_u32_e32 v3, vcc_lo, 0, v6, vcc_lo
	v_mov_b32_e32 v8, v10
	v_add_co_u32 v0, vcc_lo, 0x1000, v5
	v_mov_b32_e32 v10, v11
	v_add_co_ci_u32_e32 v1, vcc_lo, 0, v6, vcc_lo
	v_lshlrev_b64 v[7:8], 2, v[7:8]
	s_add_i32 s7, s7, s8
	v_lshlrev_b64 v[9:10], 2, v[9:10]
	global_load_dword v153, v[2:3], off offset:220
	v_mul_lo_u16 v11, v4, 3
	v_and_b32_e32 v43, 0xff, v17
	v_add_co_u32 v7, vcc_lo, s10, v7
	v_add_co_ci_u32_e32 v8, vcc_lo, s11, v8, vcc_lo
	v_add_co_u32 v7, vcc_lo, v7, v9
	v_add_co_ci_u32_e32 v8, vcc_lo, v8, v10, vcc_lo
	global_load_dword v12, v[7:8], off
	v_add_co_u32 v7, vcc_lo, v7, s0
	v_add_co_ci_u32_e32 v8, vcc_lo, s1, v8, vcc_lo
	v_add_co_u32 v9, vcc_lo, v7, s0
	v_add_co_ci_u32_e32 v10, vcc_lo, s1, v8, vcc_lo
	global_load_dword v14, v[7:8], off
	v_add_co_u32 v7, vcc_lo, v9, s6
	v_add_co_ci_u32_e32 v8, vcc_lo, s7, v10, vcc_lo
	global_load_dword v13, v[9:10], off
	s_clause 0x1
	global_load_dword v149, v125, s[12:13] offset:252
	global_load_dword v150, v[0:1], off offset:440
	global_load_dword v15, v[7:8], off
	v_add_co_u32 v7, vcc_lo, v7, s0
	v_add_co_ci_u32_e32 v8, vcc_lo, s1, v8, vcc_lo
	v_add_co_u32 v9, vcc_lo, v7, s0
	v_add_co_ci_u32_e32 v10, vcc_lo, s1, v8, vcc_lo
	global_load_dword v18, v[7:8], off
	s_clause 0x2
	global_load_dword v148, v[2:3], off offset:472
	global_load_dword v146, v125, s[12:13] offset:504
	global_load_dword v147, v[0:1], off offset:692
	global_load_dword v19, v[9:10], off
	v_add_co_u32 v7, vcc_lo, v9, s6
	v_add_co_ci_u32_e32 v8, vcc_lo, s7, v10, vcc_lo
	global_load_dword v145, v[2:3], off offset:724
	v_add_co_u32 v9, vcc_lo, v7, s0
	v_add_co_ci_u32_e32 v10, vcc_lo, s1, v8, vcc_lo
	global_load_dword v21, v[7:8], off
	v_add_co_u32 v7, vcc_lo, v9, s0
	v_add_co_ci_u32_e32 v8, vcc_lo, s1, v10, vcc_lo
	global_load_dword v20, v[9:10], off
	;; [unrolled: 3-line block ×3, first 2 shown]
	global_load_dword v144, v[0:1], off offset:944
	global_load_dword v23, v[9:10], off
	v_add_co_u32 v7, vcc_lo, v9, s0
	v_add_co_ci_u32_e32 v8, vcc_lo, s1, v10, vcc_lo
	global_load_dword v143, v125, s[12:13] offset:756
	v_add_co_u32 v9, vcc_lo, v7, s0
	v_add_co_ci_u32_e32 v10, vcc_lo, s1, v8, vcc_lo
	global_load_dword v139, v125, s[12:13] offset:1008
	global_load_dword v24, v[7:8], off
	s_clause 0x1
	global_load_dword v142, v[2:3], off offset:976
	global_load_dword v140, v[2:3], off offset:1228
	global_load_dword v27, v[9:10], off
	v_add_co_u32 v7, vcc_lo, v9, s6
	v_add_co_ci_u32_e32 v8, vcc_lo, s7, v10, vcc_lo
	s_clause 0x1
	global_load_dword v141, v[0:1], off offset:1196
	global_load_dword v138, v[0:1], off offset:1448
	v_add_co_u32 v9, vcc_lo, v7, s0
	v_add_co_ci_u32_e32 v10, vcc_lo, s1, v8, vcc_lo
	global_load_dword v29, v[7:8], off
	v_add_co_u32 v7, vcc_lo, v9, s0
	v_add_co_ci_u32_e32 v8, vcc_lo, s1, v10, vcc_lo
	global_load_dword v28, v[9:10], off
	;; [unrolled: 3-line block ×3, first 2 shown]
	v_add_co_u32 v7, vcc_lo, v9, s0
	v_add_co_ci_u32_e32 v8, vcc_lo, s1, v10, vcc_lo
	s_clause 0x2
	global_load_dword v137, v125, s[12:13] offset:1260
	global_load_dword v134, v125, s[12:13] offset:1512
	;; [unrolled: 1-line block ×3, first 2 shown]
	global_load_dword v25, v[9:10], off
	global_load_dword v135, v[0:1], off offset:1700
	global_load_dword v30, v[7:8], off
	v_add_co_u32 v7, vcc_lo, v7, s0
	v_add_co_ci_u32_e32 v8, vcc_lo, s1, v8, vcc_lo
	s_clause 0x1
	global_load_dword v136, v[2:3], off offset:1480
	global_load_dword v133, v[2:3], off offset:1732
	v_add_co_u32 v9, vcc_lo, v7, s6
	v_add_co_ci_u32_e32 v10, vcc_lo, s7, v8, vcc_lo
	global_load_dword v36, v[7:8], off
	v_add_co_u32 v7, vcc_lo, v9, s0
	v_add_co_ci_u32_e32 v8, vcc_lo, s1, v10, vcc_lo
	global_load_dword v34, v[9:10], off
	;; [unrolled: 3-line block ×3, first 2 shown]
	v_add_co_u32 v7, vcc_lo, v9, s6
	v_add_co_ci_u32_e32 v8, vcc_lo, s7, v10, vcc_lo
	v_add_co_u32 v5, vcc_lo, 0x1800, v5
	v_add_co_ci_u32_e32 v6, vcc_lo, 0, v6, vcc_lo
	global_load_dword v132, v[0:1], off offset:1952
	global_load_dword v33, v[9:10], off
	global_load_dword v130, v[2:3], off offset:1984
	global_load_dword v2, v[7:8], off
	v_add_co_u32 v7, vcc_lo, v7, s0
	v_add_co_ci_u32_e32 v8, vcc_lo, s1, v8, vcc_lo
	global_load_dword v129, v[5:6], off offset:156
	v_add_co_u32 v9, vcc_lo, v7, s0
	v_add_co_ci_u32_e32 v10, vcc_lo, s1, v8, vcc_lo
	global_load_dword v31, v[7:8], off
	v_add_co_u32 v7, vcc_lo, v9, s6
	v_add_co_ci_u32_e32 v8, vcc_lo, s7, v10, vcc_lo
	global_load_dword v35, v[9:10], off
	;; [unrolled: 3-line block ×3, first 2 shown]
	v_add_co_u32 v7, vcc_lo, v9, s0
	v_add_co_ci_u32_e32 v8, vcc_lo, s1, v10, vcc_lo
	global_load_dword v128, v125, s[12:13] offset:2016
	global_load_dword v38, v[9:10], off
	global_load_dword v39, v[7:8], off
	s_clause 0x1
	global_load_dword v127, v[0:1], off offset:188
	global_load_dword v126, v[5:6], off offset:408
	v_add_co_u32 v7, null, 0x17a, v151
	v_mov_b32_e32 v3, 2
	v_and_b32_e32 v0, 0xff, v4
	v_add_co_u32 v10, null, 0x7e, v151
	v_mul_u32_u24_e32 v50, 3, v7
	v_lshlrev_b32_sdwa v154, v3, v11 dst_sel:DWORD dst_unused:UNUSED_PAD src0_sel:DWORD src1_sel:WORD_0
	v_mul_lo_u16 v40, 0xab, v0
	v_add_co_u32 v11, s0, v151, 63
	v_lshlrev_b32_e32 v192, 2, v50
	v_mul_u32_u24_e32 v45, 3, v10
	v_lshrrev_b16 v54, 9, v40
	v_and_b32_e32 v40, 0xff, v11
	v_add_co_u32 v6, null, 0x1b9, v151
	v_lshlrev_b32_e32 v196, 2, v45
	s_load_dwordx4 s[8:11], s[2:3], 0x0
	v_mul_lo_u16 v45, 0xab, v40
	v_mul_u32_u24_e32 v52, 3, v6
	v_mov_b32_e32 v1, 0xaaab
	v_add_co_u32 v5, null, 0x1f8, v151
	v_lshrrev_b16 v45, 9, v45
	v_lshlrev_b32_e32 v191, 2, v52
	v_add_co_u32 v8, null, 0x13b, v151
	v_mul_u32_u24_sdwa v51, v5, v1 dst_sel:DWORD dst_unused:UNUSED_PAD src0_sel:WORD_0 src1_sel:DWORD
	v_mul_lo_u16 v52, v45, 3
	v_and_b32_e32 v44, 0xff, v10
	v_add_co_u32 v9, null, 0xfc, v151
	v_mul_u32_u24_e32 v42, 3, v11
	v_mul_u32_u24_e32 v49, 3, v8
	v_lshrrev_b32_e32 v51, 17, v51
	v_mul_lo_u16 v46, 0xab, v44
	v_mul_u32_u24_e32 v48, 3, v9
	v_mul_u32_u24_e32 v53, 3, v5
	v_lshlrev_b32_e32 v197, 2, v42
	v_lshlrev_b32_e32 v193, 2, v49
	v_mul_lo_u16 v42, v54, 3
	v_mul_lo_u16 v49, v51, 3
	v_lshrrev_b16 v46, 9, v46
	v_lshlrev_b32_e32 v194, 2, v48
	v_lshlrev_b32_e32 v190, 2, v53
	v_mul_lo_u16 v48, 0xab, v43
	v_sub_nc_u16 v42, v4, v42
	v_sub_nc_u16 v49, v5, v49
	v_mul_lo_u16 v53, v46, 3
	v_add_co_ci_u32_e64 v47, null, 0, 0, s0
	v_lshrrev_b16 v48, 9, v48
	v_and_b32_e32 v42, 0xff, v42
	v_cmp_gt_u16_e32 vcc_lo, 18, v4
	v_mul_lo_u16 v58, v48, 3
	s_waitcnt vmcnt(51)
	v_lshrrev_b32_e32 v50, 16, v12
	v_mul_f16_sdwa v55, v152, v12 dst_sel:DWORD dst_unused:UNUSED_PAD src0_sel:WORD_1 src1_sel:DWORD
	v_mul_f16_sdwa v56, v152, v50 dst_sel:DWORD dst_unused:UNUSED_PAD src0_sel:WORD_1 src1_sel:DWORD
	v_fma_f16 v50, v152, v50, -v55
	s_waitcnt vmcnt(50)
	v_lshrrev_b32_e32 v57, 16, v14
	v_mul_f16_sdwa v59, v153, v14 dst_sel:DWORD dst_unused:UNUSED_PAD src0_sel:WORD_1 src1_sel:DWORD
	v_fmac_f16_e32 v56, v152, v12
	s_waitcnt vmcnt(49)
	v_lshrrev_b32_e32 v55, 16, v13
	v_mul_f16_sdwa v12, v153, v57 dst_sel:DWORD dst_unused:UNUSED_PAD src0_sel:WORD_1 src1_sel:DWORD
	v_fma_f16 v57, v153, v57, -v59
	s_waitcnt vmcnt(47)
	v_mul_f16_sdwa v59, v150, v13 dst_sel:DWORD dst_unused:UNUSED_PAD src0_sel:WORD_1 src1_sel:DWORD
	v_pack_b32_f16 v50, v56, v50
	s_waitcnt vmcnt(46)
	v_lshrrev_b32_e32 v56, 16, v15
	v_fmac_f16_e32 v12, v153, v14
	v_mul_f16_sdwa v14, v150, v55 dst_sel:DWORD dst_unused:UNUSED_PAD src0_sel:WORD_1 src1_sel:DWORD
	v_mul_f16_sdwa v60, v149, v15 dst_sel:DWORD dst_unused:UNUSED_PAD src0_sel:WORD_1 src1_sel:DWORD
	v_fma_f16 v55, v150, v55, -v59
	s_waitcnt vmcnt(44)
	v_mul_f16_sdwa v59, v148, v18 dst_sel:DWORD dst_unused:UNUSED_PAD src0_sel:WORD_1 src1_sel:DWORD
	v_pack_b32_f16 v12, v12, v57
	v_fmac_f16_e32 v14, v150, v13
	v_mul_f16_sdwa v13, v149, v56 dst_sel:DWORD dst_unused:UNUSED_PAD src0_sel:WORD_1 src1_sel:DWORD
	v_lshrrev_b32_e32 v57, 16, v18
	v_fma_f16 v56, v149, v56, -v60
	ds_write_b32 v125, v12 offset:2268
	v_pack_b32_f16 v12, v14, v55
	v_fmac_f16_e32 v13, v149, v15
	v_mul_f16_sdwa v14, v148, v57 dst_sel:DWORD dst_unused:UNUSED_PAD src0_sel:WORD_1 src1_sel:DWORD
	v_fma_f16 v15, v148, v57, -v59
	s_waitcnt vmcnt(41)
	v_lshrrev_b32_e32 v55, 16, v19
	v_mul_f16_sdwa v57, v147, v19 dst_sel:DWORD dst_unused:UNUSED_PAD src0_sel:WORD_1 src1_sel:DWORD
	ds_write_b32 v125, v12 offset:4536
	v_pack_b32_f16 v12, v13, v56
	v_fmac_f16_e32 v14, v148, v18
	v_mul_f16_sdwa v13, v147, v55 dst_sel:DWORD dst_unused:UNUSED_PAD src0_sel:WORD_1 src1_sel:DWORD
	v_fma_f16 v18, v147, v55, -v57
	s_waitcnt vmcnt(39)
	v_lshrrev_b32_e32 v55, 16, v21
	v_mul_f16_sdwa v56, v146, v21 dst_sel:DWORD dst_unused:UNUSED_PAD src0_sel:WORD_1 src1_sel:DWORD
	ds_write2_b32 v125, v50, v12 offset1:63
	v_pack_b32_f16 v12, v14, v15
	v_fmac_f16_e32 v13, v147, v19
	v_mul_f16_sdwa v14, v146, v55 dst_sel:DWORD dst_unused:UNUSED_PAD src0_sel:WORD_1 src1_sel:DWORD
	s_waitcnt vmcnt(38)
	v_lshrrev_b32_e32 v15, 16, v20
	v_fma_f16 v19, v146, v55, -v56
	v_mul_f16_sdwa v50, v145, v20 dst_sel:DWORD dst_unused:UNUSED_PAD src0_sel:WORD_1 src1_sel:DWORD
	v_pack_b32_f16 v13, v13, v18
	v_fmac_f16_e32 v14, v146, v21
	v_mul_f16_sdwa v18, v145, v15 dst_sel:DWORD dst_unused:UNUSED_PAD src0_sel:WORD_1 src1_sel:DWORD
	s_waitcnt vmcnt(37)
	v_lshrrev_b32_e32 v21, 16, v22
	v_fma_f16 v15, v145, v15, -v50
	s_waitcnt vmcnt(36)
	v_mul_f16_sdwa v50, v144, v22 dst_sel:DWORD dst_unused:UNUSED_PAD src0_sel:WORD_1 src1_sel:DWORD
	v_pack_b32_f16 v14, v14, v19
	v_fmac_f16_e32 v18, v145, v20
	v_mul_f16_sdwa v19, v144, v21 dst_sel:DWORD dst_unused:UNUSED_PAD src0_sel:WORD_1 src1_sel:DWORD
	s_waitcnt vmcnt(35)
	v_lshrrev_b32_e32 v20, 16, v23
	s_waitcnt vmcnt(34)
	v_mul_f16_sdwa v55, v143, v23 dst_sel:DWORD dst_unused:UNUSED_PAD src0_sel:WORD_1 src1_sel:DWORD
	v_fma_f16 v21, v144, v21, -v50
	v_pack_b32_f16 v15, v18, v15
	v_fmac_f16_e32 v19, v144, v22
	v_mul_f16_sdwa v18, v143, v20 dst_sel:DWORD dst_unused:UNUSED_PAD src0_sel:WORD_1 src1_sel:DWORD
	s_waitcnt vmcnt(32)
	v_lshrrev_b32_e32 v22, 16, v24
	v_fma_f16 v20, v143, v20, -v55
	s_waitcnt vmcnt(31)
	v_mul_f16_sdwa v50, v142, v24 dst_sel:DWORD dst_unused:UNUSED_PAD src0_sel:WORD_1 src1_sel:DWORD
	ds_write2_b32 v102, v12, v15 offset0:118 offset1:181
	v_pack_b32_f16 v12, v19, v21
	v_fmac_f16_e32 v18, v143, v23
	v_mul_f16_sdwa v15, v142, v22 dst_sel:DWORD dst_unused:UNUSED_PAD src0_sel:WORD_1 src1_sel:DWORD
	s_waitcnt vmcnt(29)
	v_lshrrev_b32_e32 v21, 16, v27
	v_fma_f16 v19, v142, v22, -v50
	s_waitcnt vmcnt(28)
	v_mul_f16_sdwa v22, v141, v27 dst_sel:DWORD dst_unused:UNUSED_PAD src0_sel:WORD_1 src1_sel:DWORD
	ds_write2_b32 v101, v13, v12 offset0:173 offset1:236
	v_pack_b32_f16 v12, v18, v20
	v_fmac_f16_e32 v15, v142, v24
	v_mul_f16_sdwa v13, v141, v21 dst_sel:DWORD dst_unused:UNUSED_PAD src0_sel:WORD_1 src1_sel:DWORD
	s_waitcnt vmcnt(26)
	v_lshrrev_b32_e32 v20, 16, v29
	v_fma_f16 v18, v141, v21, -v22
	v_mul_f16_sdwa v21, v139, v29 dst_sel:DWORD dst_unused:UNUSED_PAD src0_sel:WORD_1 src1_sel:DWORD
	ds_write2_b32 v125, v14, v12 offset0:126 offset1:189
	v_pack_b32_f16 v12, v15, v19
	v_fmac_f16_e32 v13, v141, v27
	v_mul_f16_sdwa v14, v139, v20 dst_sel:DWORD dst_unused:UNUSED_PAD src0_sel:WORD_1 src1_sel:DWORD
	s_waitcnt vmcnt(25)
	v_lshrrev_b32_e32 v15, 16, v28
	v_fma_f16 v19, v139, v20, -v21
	v_mul_f16_sdwa v20, v140, v28 dst_sel:DWORD dst_unused:UNUSED_PAD src0_sel:WORD_1 src1_sel:DWORD
	v_pack_b32_f16 v13, v13, v18
	v_fmac_f16_e32 v14, v139, v29
	v_mul_f16_sdwa v18, v140, v15 dst_sel:DWORD dst_unused:UNUSED_PAD src0_sel:WORD_1 src1_sel:DWORD
	s_waitcnt vmcnt(24)
	v_lshrrev_b32_e32 v21, 16, v26
	v_fma_f16 v15, v140, v15, -v20
	v_mul_f16_sdwa v20, v138, v26 dst_sel:DWORD dst_unused:UNUSED_PAD src0_sel:WORD_1 src1_sel:DWORD
	v_pack_b32_f16 v14, v14, v19
	v_fmac_f16_e32 v18, v140, v28
	v_mul_f16_sdwa v19, v138, v21 dst_sel:DWORD dst_unused:UNUSED_PAD src0_sel:WORD_1 src1_sel:DWORD
	s_waitcnt vmcnt(20)
	v_lshrrev_b32_e32 v22, 16, v25
	v_mul_f16_sdwa v23, v137, v25 dst_sel:DWORD dst_unused:UNUSED_PAD src0_sel:WORD_1 src1_sel:DWORD
	v_fma_f16 v20, v138, v21, -v20
	v_pack_b32_f16 v15, v18, v15
	v_fmac_f16_e32 v19, v138, v26
	v_mul_f16_sdwa v18, v137, v22 dst_sel:DWORD dst_unused:UNUSED_PAD src0_sel:WORD_1 src1_sel:DWORD
	v_fma_f16 v21, v137, v22, -v23
	s_waitcnt vmcnt(18)
	v_lshrrev_b32_e32 v22, 16, v30
	s_waitcnt vmcnt(17)
	v_mul_f16_sdwa v23, v136, v30 dst_sel:DWORD dst_unused:UNUSED_PAD src0_sel:WORD_1 src1_sel:DWORD
	ds_write2_b32 v99, v12, v15 offset0:116 offset1:179
	v_pack_b32_f16 v12, v19, v20
	v_fmac_f16_e32 v18, v137, v25
	v_mul_f16_sdwa v15, v136, v22 dst_sel:DWORD dst_unused:UNUSED_PAD src0_sel:WORD_1 src1_sel:DWORD
	v_fma_f16 v19, v136, v22, -v23
	s_waitcnt vmcnt(15)
	v_lshrrev_b32_e32 v20, 16, v36
	v_mul_f16_sdwa v22, v135, v36 dst_sel:DWORD dst_unused:UNUSED_PAD src0_sel:WORD_1 src1_sel:DWORD
	ds_write2_b32 v103, v13, v12 offset0:43 offset1:106
	v_pack_b32_f16 v12, v18, v21
	v_fmac_f16_e32 v15, v136, v30
	v_mul_f16_sdwa v13, v135, v20 dst_sel:DWORD dst_unused:UNUSED_PAD src0_sel:WORD_1 src1_sel:DWORD
	v_fma_f16 v18, v135, v20, -v22
	s_waitcnt vmcnt(14)
	v_lshrrev_b32_e32 v20, 16, v34
	v_mul_f16_sdwa v21, v134, v34 dst_sel:DWORD dst_unused:UNUSED_PAD src0_sel:WORD_1 src1_sel:DWORD
	ds_write2_b32 v100, v14, v12 offset0:124 offset1:187
	v_pack_b32_f16 v12, v15, v19
	v_fmac_f16_e32 v13, v135, v36
	v_mul_f16_sdwa v14, v134, v20 dst_sel:DWORD dst_unused:UNUSED_PAD src0_sel:WORD_1 src1_sel:DWORD
	s_waitcnt vmcnt(13)
	v_lshrrev_b32_e32 v15, 16, v32
	v_fma_f16 v19, v134, v20, -v21
	v_mul_f16_sdwa v20, v133, v32 dst_sel:DWORD dst_unused:UNUSED_PAD src0_sel:WORD_1 src1_sel:DWORD
	v_pack_b32_f16 v13, v13, v18
	v_fmac_f16_e32 v14, v134, v34
	v_mul_f16_sdwa v18, v133, v15 dst_sel:DWORD dst_unused:UNUSED_PAD src0_sel:WORD_1 src1_sel:DWORD
	s_waitcnt vmcnt(11)
	v_lshrrev_b32_e32 v21, 16, v33
	v_fma_f16 v15, v133, v15, -v20
	v_mul_f16_sdwa v20, v132, v33 dst_sel:DWORD dst_unused:UNUSED_PAD src0_sel:WORD_1 src1_sel:DWORD
	v_pack_b32_f16 v14, v14, v19
	v_fmac_f16_e32 v18, v133, v32
	v_mul_f16_sdwa v19, v132, v21 dst_sel:DWORD dst_unused:UNUSED_PAD src0_sel:WORD_1 src1_sel:DWORD
	s_waitcnt vmcnt(9)
	v_lshrrev_b32_e32 v22, 16, v2
	v_mul_f16_sdwa v23, v131, v2 dst_sel:DWORD dst_unused:UNUSED_PAD src0_sel:WORD_1 src1_sel:DWORD
	v_fma_f16 v20, v132, v21, -v20
	v_pack_b32_f16 v15, v18, v15
	v_fmac_f16_e32 v19, v132, v33
	v_mul_f16_sdwa v18, v131, v22 dst_sel:DWORD dst_unused:UNUSED_PAD src0_sel:WORD_1 src1_sel:DWORD
	v_fma_f16 v21, v131, v22, -v23
	s_waitcnt vmcnt(7)
	v_lshrrev_b32_e32 v22, 16, v31
	v_mul_f16_sdwa v23, v130, v31 dst_sel:DWORD dst_unused:UNUSED_PAD src0_sel:WORD_1 src1_sel:DWORD
	ds_write2_b32 v104, v12, v15 offset0:114 offset1:177
	v_pack_b32_f16 v12, v19, v20
	v_fmac_f16_e32 v18, v131, v2
	s_waitcnt vmcnt(6)
	v_lshrrev_b32_e32 v2, 16, v35
	v_mul_f16_sdwa v20, v129, v35 dst_sel:DWORD dst_unused:UNUSED_PAD src0_sel:WORD_1 src1_sel:DWORD
	v_mul_f16_sdwa v15, v130, v22 dst_sel:DWORD dst_unused:UNUSED_PAD src0_sel:WORD_1 src1_sel:DWORD
	v_fma_f16 v19, v130, v22, -v23
	s_waitcnt vmcnt(5)
	v_lshrrev_b32_e32 v22, 16, v37
	v_pack_b32_f16 v18, v18, v21
	v_mul_f16_sdwa v21, v129, v2 dst_sel:DWORD dst_unused:UNUSED_PAD src0_sel:WORD_1 src1_sel:DWORD
	v_fma_f16 v2, v129, v2, -v20
	s_waitcnt vmcnt(4)
	v_mul_f16_sdwa v20, v128, v37 dst_sel:DWORD dst_unused:UNUSED_PAD src0_sel:WORD_1 src1_sel:DWORD
	s_waitcnt vmcnt(3)
	v_lshrrev_b32_e32 v23, 16, v38
	s_waitcnt vmcnt(2)
	v_lshrrev_b32_e32 v25, 16, v39
	v_mul_f16_sdwa v24, v128, v22 dst_sel:DWORD dst_unused:UNUSED_PAD src0_sel:WORD_1 src1_sel:DWORD
	s_waitcnt vmcnt(0)
	v_mul_f16_sdwa v27, v126, v39 dst_sel:DWORD dst_unused:UNUSED_PAD src0_sel:WORD_1 src1_sel:DWORD
	v_fma_f16 v20, v128, v22, -v20
	v_mul_f16_sdwa v22, v127, v38 dst_sel:DWORD dst_unused:UNUSED_PAD src0_sel:WORD_1 src1_sel:DWORD
	v_mul_f16_sdwa v26, v127, v23 dst_sel:DWORD dst_unused:UNUSED_PAD src0_sel:WORD_1 src1_sel:DWORD
	v_mul_f16_sdwa v28, v126, v25 dst_sel:DWORD dst_unused:UNUSED_PAD src0_sel:WORD_1 src1_sel:DWORD
	v_fmac_f16_e32 v15, v130, v31
	v_fmac_f16_e32 v24, v128, v37
	v_fma_f16 v22, v127, v23, -v22
	v_fmac_f16_e32 v26, v127, v38
	v_fmac_f16_e32 v21, v129, v35
	v_fma_f16 v23, v126, v25, -v27
	v_fmac_f16_e32 v28, v126, v39
	v_pack_b32_f16 v15, v15, v19
	v_pack_b32_f16 v19, v24, v20
	;; [unrolled: 1-line block ×5, first 2 shown]
	ds_write2_b32 v103, v13, v12 offset0:169 offset1:232
	ds_write2_b32 v198, v14, v18 offset0:122 offset1:185
	ds_write_b32 v125, v19 offset:2016
	ds_write2_b32 v107, v15, v20 offset0:112 offset1:175
	ds_write2_b32 v41, v2, v21 offset0:39 offset1:102
	s_waitcnt lgkmcnt(0)
	s_barrier
	buffer_gl0_inv
	ds_read2_b32 v[12:13], v125 offset1:63
	ds_read2_b32 v[14:15], v102 offset0:118 offset1:181
	ds_read2_b32 v[18:19], v101 offset0:110 offset1:173
	;; [unrolled: 1-line block ×5, first 2 shown]
	v_sub_nc_u16 v50, v11, v52
	ds_read2_b32 v[26:27], v109 offset0:120 offset1:183
	ds_read2_b32 v[28:29], v100 offset0:124 offset1:187
	;; [unrolled: 1-line block ×7, first 2 shown]
	ds_read_b32 v52, v125 offset:6552
	v_lshlrev_b16 v2, 1, v49
	s_waitcnt lgkmcnt(0)
	s_barrier
	buffer_gl0_inv
	v_lshlrev_b32_e32 v41, 3, v42
	v_lshlrev_b32_sdwa v2, v3, v2 dst_sel:DWORD dst_unused:UNUSED_PAD src0_sel:DWORD src1_sel:WORD_0
	v_pk_add_f16 v57, v20, v15
	v_pk_add_f16 v62, v27, v18
	v_pk_add_f16 v63, v27, v18 neg_lo:[0,1] neg_hi:[0,1]
	v_pk_add_f16 v55, v13, v14
	v_pk_add_f16 v56, v14, v19
	v_pk_add_f16 v14, v14, v19 neg_lo:[0,1] neg_hi:[0,1]
	v_pk_add_f16 v59, v15, v22
	v_pk_add_f16 v15, v15, v22 neg_lo:[0,1] neg_hi:[0,1]
	v_pk_add_f16 v60, v21, v24
	v_pk_add_f16 v61, v24, v23
	v_pk_add_f16 v24, v24, v23 neg_lo:[0,1] neg_hi:[0,1]
	v_pk_add_f16 v64, v28, v25
	;; [unrolled: 3-line block ×3, first 2 shown]
	v_pk_add_f16 v27, v12, v27
	v_pk_add_f16 v67, v29, v32
	;; [unrolled: 1-line block ×4, first 2 shown]
	v_pk_add_f16 v32, v32, v31 neg_lo:[0,1] neg_hi:[0,1]
	v_pk_add_f16 v70, v34, v33
	v_pk_add_f16 v71, v35, v38
	v_pk_add_f16 v33, v33, v36 neg_lo:[0,1] neg_hi:[0,1]
	v_pk_add_f16 v72, v39, v52
	v_pk_add_f16 v38, v38, v37 neg_lo:[0,1] neg_hi:[0,1]
	;; [unrolled: 2-line block ×3, first 2 shown]
	v_pk_add_f16 v22, v57, v22
	v_pk_fma_f16 v12, v62, 0.5, v12 op_sel_hi:[1,0,1] neg_lo:[1,0,0] neg_hi:[1,0,0]
	v_pk_mul_f16 v57, 0x3aee, v63 op_sel_hi:[0,1]
	v_pk_fma_f16 v13, v56, 0.5, v13 op_sel_hi:[1,0,1] neg_lo:[1,0,0] neg_hi:[1,0,0]
	v_pk_mul_f16 v14, 0x3aee, v14 op_sel_hi:[0,1]
	;; [unrolled: 2-line block ×3, first 2 shown]
	v_pk_fma_f16 v21, v61, 0.5, v21 op_sel_hi:[1,0,1] neg_lo:[1,0,0] neg_hi:[1,0,0]
	v_pk_fma_f16 v28, v65, 0.5, v28 op_sel_hi:[1,0,1] neg_lo:[1,0,0] neg_hi:[1,0,0]
	;; [unrolled: 1-line block ×3, first 2 shown]
	v_pk_add_f16 v18, v27, v18
	v_pk_add_f16 v27, v64, v30
	;; [unrolled: 1-line block ×3, first 2 shown]
	v_pk_fma_f16 v31, v68, 0.5, v34 op_sel_hi:[1,0,1] neg_lo:[1,0,0] neg_hi:[1,0,0]
	v_pk_fma_f16 v34, v69, 0.5, v35 op_sel_hi:[1,0,1] neg_lo:[1,0,0] neg_hi:[1,0,0]
	v_pk_add_f16 v35, v70, v36
	v_pk_add_f16 v36, v71, v37
	v_pk_fma_f16 v26, v72, 0.5, v26 op_sel_hi:[1,0,1] neg_lo:[1,0,0] neg_hi:[1,0,0]
	v_pk_mul_f16 v24, 0x3aee, v24 op_sel_hi:[0,1]
	v_pk_mul_f16 v25, 0x3aee, v25 op_sel_hi:[0,1]
	;; [unrolled: 1-line block ×5, first 2 shown]
	v_pk_add_f16 v38, v73, v52
	v_pk_mul_f16 v39, 0x3aee, v39 op_sel_hi:[0,1]
	v_pk_add_f16 v52, v12, v57 op_sel:[0,1] op_sel_hi:[1,0]
	v_pk_add_f16 v12, v12, v57 op_sel:[0,1] op_sel_hi:[1,0] neg_lo:[0,1] neg_hi:[0,1]
	v_pk_add_f16 v19, v55, v19
	v_pk_add_f16 v55, v13, v14 op_sel:[0,1] op_sel_hi:[1,0]
	v_pk_add_f16 v13, v13, v14 op_sel:[0,1] op_sel_hi:[1,0] neg_lo:[0,1] neg_hi:[0,1]
	v_pk_add_f16 v14, v20, v15 op_sel:[0,1] op_sel_hi:[1,0]
	v_pk_add_f16 v15, v20, v15 op_sel:[0,1] op_sel_hi:[1,0] neg_lo:[0,1] neg_hi:[0,1]
	;; [unrolled: 2-line block ×8, first 2 shown]
	v_bfi_b32 v39, 0xffff, v52, v12
	v_bfi_b32 v12, 0xffff, v12, v52
	;; [unrolled: 1-line block ×6, first 2 shown]
	v_pk_add_f16 v23, v60, v23
	v_bfi_b32 v15, 0xffff, v20, v21
	v_bfi_b32 v20, 0xffff, v21, v20
	;; [unrolled: 1-line block ×12, first 2 shown]
	ds_write2_b32 v154, v18, v39 offset1:1
	ds_write_b32 v154, v12 offset:8
	ds_write2_b32 v197, v19, v56 offset1:1
	ds_write_b32 v197, v13 offset:8
	;; [unrolled: 2-line block ×9, first 2 shown]
	v_sub_nc_u16 v12, v10, v53
	v_and_b32_e32 v14, 0xff, v50
	s_waitcnt lgkmcnt(0)
	s_barrier
	buffer_gl0_inv
	v_and_b32_e32 v18, 0xff, v12
	v_lshlrev_b32_e32 v12, 3, v14
	global_load_dwordx2 v[89:90], v2, s[14:15]
	v_mul_u32_u24_sdwa v13, v9, v1 dst_sel:DWORD dst_unused:UNUSED_PAD src0_sel:WORD_0 src1_sel:DWORD
	v_mul_u32_u24_sdwa v15, v8, v1 dst_sel:DWORD dst_unused:UNUSED_PAD src0_sel:WORD_0 src1_sel:DWORD
	s_clause 0x1
	global_load_dwordx2 v[79:80], v41, s[14:15]
	global_load_dwordx2 v[81:82], v12, s[14:15]
	v_sub_nc_u16 v2, v17, v58
	v_mul_u32_u24_sdwa v19, v7, v1 dst_sel:DWORD dst_unused:UNUSED_PAD src0_sel:WORD_0 src1_sel:DWORD
	v_lshrrev_b32_e32 v15, 17, v15
	v_mul_u32_u24_sdwa v1, v6, v1 dst_sel:DWORD dst_unused:UNUSED_PAD src0_sel:WORD_0 src1_sel:DWORD
	v_mul_lo_u16 v38, v0, 57
	v_and_b32_e32 v22, 0xff, v2
	v_lshrrev_b32_e32 v2, 17, v13
	v_lshrrev_b32_e32 v19, 17, v19
	v_mul_lo_u16 v23, v15, 3
	v_lshrrev_b32_e32 v1, 17, v1
	v_lshlrev_b32_e32 v13, 3, v18
	v_mul_lo_u16 v20, v2, 3
	v_mul_lo_u16 v24, v19, 3
	v_sub_nc_u16 v23, v8, v23
	v_lshlrev_b32_e32 v21, 3, v22
	v_mul_lo_u16 v12, v1, 3
	v_sub_nc_u16 v20, v9, v20
	s_clause 0x1
	global_load_dwordx2 v[83:84], v13, s[14:15]
	global_load_dwordx2 v[85:86], v21, s[14:15]
	v_sub_nc_u16 v13, v7, v24
	v_lshlrev_b16 v21, 1, v23
	v_lshlrev_b16 v25, 1, v20
	v_sub_nc_u16 v12, v6, v12
	v_mad_u16 v2, v2, 9, v20
	v_mad_u16 v15, v15, 9, v23
	v_lshlrev_b32_sdwa v21, v3, v21 dst_sel:DWORD dst_unused:UNUSED_PAD src0_sel:DWORD src1_sel:WORD_0
	v_lshlrev_b32_sdwa v24, v3, v25 dst_sel:DWORD dst_unused:UNUSED_PAD src0_sel:DWORD src1_sel:WORD_0
	v_lshlrev_b16 v25, 1, v13
	v_lshlrev_b16 v26, 1, v12
	v_mad_u16 v13, v19, 9, v13
	s_clause 0x1
	global_load_dwordx2 v[91:92], v21, s[14:15]
	global_load_dwordx2 v[87:88], v24, s[14:15]
	v_lshlrev_b32_sdwa v24, v3, v25 dst_sel:DWORD dst_unused:UNUSED_PAD src0_sel:DWORD src1_sel:WORD_0
	v_lshlrev_b32_sdwa v21, v3, v26 dst_sel:DWORD dst_unused:UNUSED_PAD src0_sel:DWORD src1_sel:WORD_0
	s_clause 0x1
	global_load_dwordx2 v[93:94], v24, s[14:15]
	global_load_dwordx2 v[95:96], v21, s[14:15]
	v_mov_b32_e32 v21, 9
	v_mad_u16 v1, v1, 9, v12
	v_mad_u16 v12, v51, 9, v49
	v_lshlrev_b32_sdwa v185, v3, v2 dst_sel:DWORD dst_unused:UNUSED_PAD src0_sel:DWORD src1_sel:WORD_0
	v_lshlrev_b32_sdwa v184, v3, v15 dst_sel:DWORD dst_unused:UNUSED_PAD src0_sel:DWORD src1_sel:WORD_0
	v_mul_u32_u24_sdwa v25, v45, v21 dst_sel:DWORD dst_unused:UNUSED_PAD src0_sel:WORD_0 src1_sel:DWORD
	v_mul_u32_u24_sdwa v26, v46, v21 dst_sel:DWORD dst_unused:UNUSED_PAD src0_sel:WORD_0 src1_sel:DWORD
	;; [unrolled: 1-line block ×4, first 2 shown]
	v_lshlrev_b32_sdwa v183, v3, v13 dst_sel:DWORD dst_unused:UNUSED_PAD src0_sel:DWORD src1_sel:WORD_0
	v_lshlrev_b32_sdwa v182, v3, v1 dst_sel:DWORD dst_unused:UNUSED_PAD src0_sel:DWORD src1_sel:WORD_0
	;; [unrolled: 1-line block ×3, first 2 shown]
	ds_read2_b32 v[1:2], v107 offset0:112 offset1:175
	ds_read_b32 v41, v125 offset:6552
	ds_read2_b32 v[12:13], v109 offset0:120 offset1:183
	v_add_lshl_u32 v188, v25, v14, 2
	ds_read2_b32 v[14:15], v101 offset0:110 offset1:173
	v_add_lshl_u32 v187, v26, v18, 2
	ds_read2_b32 v[18:19], v102 offset0:118 offset1:181
	ds_read2_b32 v[20:21], v125 offset1:63
	v_add_lshl_u32 v189, v24, v42, 2
	v_add_lshl_u32 v186, v27, v22, 2
	ds_read2_b32 v[22:23], v125 offset0:126 offset1:189
	ds_read2_b32 v[24:25], v106 offset0:108 offset1:171
	;; [unrolled: 1-line block ×8, first 2 shown]
	v_mul_lo_u16 v39, v40, 57
	s_waitcnt vmcnt(0) lgkmcnt(0)
	s_barrier
	buffer_gl0_inv
	v_mul_lo_u16 v0, v0, 19
	v_lshrrev_b32_e32 v42, 16, v2
	v_lshrrev_b32_e32 v45, 16, v41
	v_lshrrev_b32_e32 v48, 16, v13
	v_lshrrev_b32_e32 v55, 16, v24
	v_lshrrev_b32_e32 v49, 16, v14
	v_lshrrev_b32_e32 v50, 16, v15
	v_lshrrev_b32_e32 v51, 16, v18
	v_lshrrev_b32_e32 v54, 16, v19
	v_lshrrev_b32_e32 v56, 16, v25
	v_lshrrev_b32_e32 v57, 16, v26
	v_lshrrev_b32_e32 v60, 16, v27
	v_lshrrev_b32_e32 v61, 16, v30
	v_lshrrev_b32_e32 v62, 16, v31
	v_lshrrev_b32_e32 v63, 16, v32
	v_lshrrev_b32_e32 v66, 16, v33
	v_lshrrev_b32_e32 v67, 16, v1
	v_lshrrev_b32_e32 v68, 16, v36
	v_lshrrev_b32_e32 v69, 16, v37
	v_lshrrev_b32_e32 v53, 16, v20
	v_lshrrev_b32_e32 v46, 16, v12
	v_lshrrev_b32_e32 v52, 16, v21
	v_lshrrev_b32_e32 v59, 16, v22
	v_lshrrev_b32_e32 v58, 16, v23
	v_lshrrev_b32_e32 v64, 16, v29
	v_lshrrev_b32_e32 v65, 16, v28
	v_lshrrev_b32_e32 v70, 16, v35
	v_lshrrev_b32_e32 v71, 16, v34
	v_mul_f16_sdwa v72, v42, v89 dst_sel:DWORD dst_unused:UNUSED_PAD src0_sel:DWORD src1_sel:WORD_1
	v_mul_f16_sdwa v73, v45, v90 dst_sel:DWORD dst_unused:UNUSED_PAD src0_sel:DWORD src1_sel:WORD_1
	;; [unrolled: 1-line block ×12, first 2 shown]
	v_fma_f16 v41, v41, v90, -v73
	v_fmac_f16_e32 v74, v42, v89
	v_fmac_f16_e32 v75, v45, v90
	v_fma_f16 v2, v2, v89, -v72
	v_fma_f16 v13, v13, v79, -v76
	;; [unrolled: 1-line block ×4, first 2 shown]
	v_fmac_f16_e32 v98, v50, v82
	v_fmac_f16_e32 v110, v51, v81
	v_fma_f16 v18, v18, v81, -v111
	v_mul_f16_sdwa v112, v54, v83 dst_sel:DWORD dst_unused:UNUSED_PAD src0_sel:DWORD src1_sel:WORD_1
	v_mul_f16_sdwa v113, v19, v83 dst_sel:DWORD dst_unused:UNUSED_PAD src0_sel:DWORD src1_sel:WORD_1
	;; [unrolled: 1-line block ×8, first 2 shown]
	v_fmac_f16_e32 v77, v48, v79
	v_fmac_f16_e32 v108, v49, v80
	v_fma_f16 v19, v19, v83, -v112
	v_fma_f16 v24, v24, v84, -v114
	v_fmac_f16_e32 v116, v56, v86
	v_mul_f16_sdwa v123, v62, v92 dst_sel:DWORD dst_unused:UNUSED_PAD src0_sel:DWORD src1_sel:WORD_1
	v_mul_f16_sdwa v120, v60, v87 dst_sel:DWORD dst_unused:UNUSED_PAD src0_sel:DWORD src1_sel:WORD_1
	;; [unrolled: 1-line block ×16, first 2 shown]
	v_fmac_f16_e32 v118, v57, v85
	v_fmac_f16_e32 v113, v54, v83
	;; [unrolled: 1-line block ×3, first 2 shown]
	v_fma_f16 v25, v25, v86, -v115
	v_fma_f16 v26, v26, v85, -v119
	v_fma_f16 v27, v27, v87, -v120
	v_fma_f16 v30, v30, v88, -v122
	v_fma_f16 v31, v31, v92, -v123
	v_fmac_f16_e32 v121, v60, v87
	v_fmac_f16_e32 v124, v61, v88
	;; [unrolled: 1-line block ×4, first 2 shown]
	v_fma_f16 v32, v32, v91, -v157
	v_fma_f16 v33, v33, v93, -v158
	;; [unrolled: 1-line block ×5, first 2 shown]
	v_fmac_f16_e32 v159, v66, v93
	v_fmac_f16_e32 v164, v68, v94
	;; [unrolled: 1-line block ×4, first 2 shown]
	v_add_f16_e32 v42, v2, v41
	v_add_f16_e32 v48, v74, v75
	;; [unrolled: 1-line block ×8, first 2 shown]
	v_sub_f16_e32 v49, v74, v75
	v_add_f16_e32 v50, v46, v74
	v_add_f16_e32 v54, v21, v18
	;; [unrolled: 1-line block ×3, first 2 shown]
	v_sub_f16_e32 v66, v77, v108
	v_add_f16_e32 v69, v118, v116
	v_add_f16_e32 v74, v19, v24
	;; [unrolled: 1-line block ×6, first 2 shown]
	v_sub_f16_e32 v2, v2, v41
	v_sub_f16_e32 v57, v110, v98
	;; [unrolled: 1-line block ×4, first 2 shown]
	v_add_f16_e32 v67, v26, v25
	v_add_f16_e32 v68, v23, v26
	;; [unrolled: 1-line block ×3, first 2 shown]
	v_sub_f16_e32 v73, v118, v116
	v_sub_f16_e32 v97, v113, v117
	v_add_f16_e32 v110, v32, v31
	v_add_f16_e32 v111, v29, v32
	;; [unrolled: 1-line block ×4, first 2 shown]
	v_sub_f16_e32 v114, v156, v155
	v_add_f16_e32 v115, v27, v30
	v_add_f16_e32 v118, v28, v27
	;; [unrolled: 1-line block ×7, first 2 shown]
	v_sub_f16_e32 v158, v161, v165
	v_add_f16_e32 v160, v33, v36
	v_add_f16_e32 v161, v34, v33
	;; [unrolled: 1-line block ×4, first 2 shown]
	v_fmac_f16_e32 v12, -0.5, v42
	v_fmac_f16_e32 v46, -0.5, v48
	;; [unrolled: 1-line block ×4, first 2 shown]
	v_fma_f16 v20, -0.5, v60, v20
	v_add_f16_e32 v14, v61, v14
	v_add_f16_e32 v42, v62, v108
	v_fmac_f16_e32 v53, -0.5, v63
	v_sub_f16_e32 v26, v26, v25
	v_sub_f16_e32 v19, v19, v24
	v_add_f16_e32 v15, v54, v15
	v_add_f16_e32 v48, v56, v98
	v_fmac_f16_e32 v58, -0.5, v69
	v_fma_f16 v22, -0.5, v74, v22
	v_add_f16_e32 v24, v76, v24
	v_add_f16_e32 v51, v77, v117
	v_fmac_f16_e32 v59, -0.5, v78
	v_sub_f16_e32 v32, v32, v31
	v_sub_f16_e32 v121, v121, v124
	;; [unrolled: 1-line block ×3, first 2 shown]
	v_add_f16_e32 v123, v35, v1
	v_sub_f16_e32 v1, v1, v37
	v_sub_f16_e32 v159, v159, v164
	;; [unrolled: 1-line block ×3, first 2 shown]
	v_fmac_f16_e32 v23, -0.5, v67
	v_add_f16_e32 v25, v68, v25
	v_add_f16_e32 v54, v72, v116
	v_fmac_f16_e32 v29, -0.5, v110
	v_fmac_f16_e32 v64, -0.5, v112
	v_fma_f16 v28, -0.5, v115, v28
	v_add_f16_e32 v55, v119, v124
	v_add_f16_e32 v30, v118, v30
	v_fmac_f16_e32 v65, -0.5, v120
	v_add_f16_e32 v31, v111, v31
	v_add_f16_e32 v56, v113, v155
	v_fmac_f16_e32 v35, -0.5, v122
	v_fmac_f16_e32 v70, -0.5, v156
	v_fma_f16 v34, -0.5, v160, v34
	v_add_f16_e32 v60, v162, v164
	v_add_f16_e32 v36, v161, v36
	v_fmac_f16_e32 v71, -0.5, v163
	v_add_f16_e32 v41, v45, v41
	v_add_f16_e32 v45, v50, v75
	v_fmamk_f16 v50, v49, 0x3aee, v12
	v_fmac_f16_e32 v12, 0xbaee, v49
	v_fmamk_f16 v49, v2, 0xbaee, v46
	v_fmac_f16_e32 v46, 0x3aee, v2
	;; [unrolled: 2-line block ×4, first 2 shown]
	v_pack_b32_f16 v14, v14, v42
	v_fmamk_f16 v18, v66, 0x3aee, v20
	v_fmamk_f16 v42, v13, 0xbaee, v53
	v_fmac_f16_e32 v20, 0xbaee, v66
	v_fmac_f16_e32 v53, 0x3aee, v13
	v_pack_b32_f16 v13, v15, v48
	v_fmamk_f16 v48, v26, 0xbaee, v58
	v_fmac_f16_e32 v58, 0x3aee, v26
	v_pack_b32_f16 v24, v24, v51
	v_fmamk_f16 v26, v97, 0x3aee, v22
	v_fmamk_f16 v51, v19, 0xbaee, v59
	v_add_f16_e32 v37, v123, v37
	v_add_f16_e32 v61, v157, v165
	v_fmamk_f16 v15, v73, 0x3aee, v23
	v_fmac_f16_e32 v23, 0xbaee, v73
	v_fmac_f16_e32 v22, 0xbaee, v97
	;; [unrolled: 1-line block ×3, first 2 shown]
	v_pack_b32_f16 v19, v25, v54
	v_fmamk_f16 v25, v114, 0x3aee, v29
	v_fmac_f16_e32 v29, 0xbaee, v114
	v_fmamk_f16 v54, v32, 0xbaee, v64
	v_fmac_f16_e32 v64, 0x3aee, v32
	v_pack_b32_f16 v30, v30, v55
	v_fmamk_f16 v32, v121, 0x3aee, v28
	v_fmamk_f16 v55, v27, 0xbaee, v65
	v_fmac_f16_e32 v28, 0xbaee, v121
	v_fmac_f16_e32 v65, 0x3aee, v27
	v_pack_b32_f16 v27, v31, v56
	v_fmamk_f16 v31, v158, 0x3aee, v35
	v_fmac_f16_e32 v35, 0xbaee, v158
	v_fmamk_f16 v56, v1, 0xbaee, v70
	v_fmac_f16_e32 v70, 0x3aee, v1
	v_pack_b32_f16 v1, v36, v60
	v_fmamk_f16 v36, v159, 0x3aee, v34
	v_fmamk_f16 v60, v33, 0xbaee, v71
	v_fmac_f16_e32 v34, 0xbaee, v159
	v_fmac_f16_e32 v71, 0x3aee, v33
	v_pack_b32_f16 v18, v18, v42
	v_pack_b32_f16 v20, v20, v53
	;; [unrolled: 1-line block ×20, first 2 shown]
	ds_write2_b32 v189, v14, v18 offset1:3
	ds_write_b32 v189, v20 offset:24
	ds_write2_b32 v188, v13, v2 offset1:3
	ds_write_b32 v188, v21 offset:24
	;; [unrolled: 2-line block ×9, first 2 shown]
	v_mul_lo_u16 v1, v44, 57
	v_lshrrev_b16 v18, 9, v38
	v_mul_lo_u16 v2, v43, 57
	v_lshrrev_b16 v19, 9, v39
	v_mov_b32_e32 v22, 0xe38f
	v_lshrrev_b16 v20, 9, v1
	v_mul_lo_u16 v1, v18, 9
	v_lshrrev_b16 v21, 9, v2
	v_mul_lo_u16 v2, v19, 9
	v_mul_u32_u24_sdwa v14, v9, v22 dst_sel:DWORD dst_unused:UNUSED_PAD src0_sel:WORD_0 src1_sel:DWORD
	v_mul_lo_u16 v12, v20, 9
	v_sub_nc_u16 v1, v4, v1
	v_mul_u32_u24_sdwa v15, v6, v22 dst_sel:DWORD dst_unused:UNUSED_PAD src0_sel:WORD_0 src1_sel:DWORD
	v_sub_nc_u16 v2, v11, v2
	v_lshrrev_b32_e32 v24, 19, v14
	v_mul_lo_u16 v13, v21, 9
	v_and_b32_e32 v23, 0xff, v1
	v_mul_u32_u24_sdwa v1, v8, v22 dst_sel:DWORD dst_unused:UNUSED_PAD src0_sel:WORD_0 src1_sel:DWORD
	v_and_b32_e32 v25, 0xff, v2
	v_mul_lo_u16 v2, v24, 9
	v_sub_nc_u16 v12, v10, v12
	v_lshrrev_b32_e32 v38, 19, v15
	v_lshrrev_b32_e32 v27, 19, v1
	v_mul_u32_u24_sdwa v1, v7, v22 dst_sel:DWORD dst_unused:UNUSED_PAD src0_sel:WORD_0 src1_sel:DWORD
	v_sub_nc_u16 v29, v9, v2
	v_sub_nc_u16 v13, v17, v13
	v_and_b32_e32 v26, 0xff, v12
	v_mul_lo_u16 v2, v27, 9
	v_lshrrev_b32_e32 v30, 19, v1
	v_lshlrev_b16 v14, 3, v29
	v_mul_lo_u16 v15, v38, 9
	v_and_b32_e32 v28, 0xff, v13
	v_sub_nc_u16 v31, v8, v2
	v_mul_lo_u16 v2, v30, 9
	v_lshlrev_b32_e32 v12, 3, v23
	v_and_b32_e32 v14, 0xffff, v14
	v_lshlrev_b32_e32 v1, 3, v25
	v_lshlrev_b32_e32 v13, 3, v26
	v_sub_nc_u16 v34, v7, v2
	v_sub_nc_u16 v39, v6, v15
	v_lshlrev_b32_e32 v32, 3, v28
	v_lshlrev_b16 v33, 3, v31
	s_waitcnt lgkmcnt(0)
	s_barrier
	buffer_gl0_inv
	s_clause 0x3
	global_load_dwordx2 v[61:62], v12, s[14:15] offset:24
	global_load_dwordx2 v[63:64], v1, s[14:15] offset:24
	;; [unrolled: 1-line block ×4, first 2 shown]
	v_lshlrev_b16 v13, 3, v34
	v_add_co_u32 v1, s0, s14, v14
	v_add_co_ci_u32_e64 v2, null, s15, 0, s0
	v_lshlrev_b16 v32, 3, v39
	v_and_b32_e32 v12, 0xffff, v33
	v_and_b32_e32 v14, 0xffff, v13
	global_load_dwordx2 v[69:70], v[1:2], off offset:24
	v_and_b32_e32 v1, 0xffff, v32
	v_add_co_u32 v12, s0, s14, v12
	v_add_co_ci_u32_e64 v13, null, s15, 0, s0
	v_add_co_u32 v14, s0, s14, v14
	v_add_co_ci_u32_e64 v15, null, s15, 0, s0
	;; [unrolled: 2-line block ×3, first 2 shown]
	s_clause 0x1
	global_load_dwordx2 v[71:72], v[12:13], off offset:24
	global_load_dwordx2 v[73:74], v[14:15], off offset:24
	v_mad_u16 v13, v24, 27, v29
	v_mad_u16 v14, v27, 27, v31
	global_load_dwordx2 v[75:76], v[1:2], off offset:24
	v_mul_u32_u24_sdwa v1, v5, v22 dst_sel:DWORD dst_unused:UNUSED_PAD src0_sel:WORD_0 src1_sel:DWORD
	v_mad_u16 v15, v30, 27, v34
	v_lshlrev_b32_sdwa v174, v3, v13 dst_sel:DWORD dst_unused:UNUSED_PAD src0_sel:DWORD src1_sel:WORD_0
	v_lshlrev_b32_sdwa v173, v3, v14 dst_sel:DWORD dst_unused:UNUSED_PAD src0_sel:DWORD src1_sel:WORD_0
	v_lshrrev_b32_e32 v41, 19, v1
	v_lshlrev_b32_sdwa v172, v3, v15 dst_sel:DWORD dst_unused:UNUSED_PAD src0_sel:DWORD src1_sel:WORD_0
	v_mul_lo_u16 v1, v41, 9
	v_sub_nc_u16 v42, v5, v1
	v_lshlrev_b16 v1, 3, v42
	v_and_b32_e32 v1, 0xffff, v1
	v_add_co_u32 v1, s0, s14, v1
	v_add_co_ci_u32_e64 v2, null, s15, 0, s0
	global_load_dwordx2 v[77:78], v[1:2], off offset:24
	v_mul_lo_u16 v1, v18, 27
	v_mov_b32_e32 v2, 27
	v_and_b32_e32 v1, 0xff, v1
	v_mul_u32_u24_sdwa v12, v19, v2 dst_sel:DWORD dst_unused:UNUSED_PAD src0_sel:WORD_0 src1_sel:DWORD
	v_mul_u32_u24_sdwa v20, v20, v2 dst_sel:DWORD dst_unused:UNUSED_PAD src0_sel:WORD_0 src1_sel:DWORD
	;; [unrolled: 1-line block ×3, first 2 shown]
	v_add_lshl_u32 v178, v1, v23, 2
	ds_read2_b32 v[1:2], v101 offset0:110 offset1:173
	v_add_lshl_u32 v177, v12, v25, 2
	ds_read2_b32 v[12:13], v102 offset0:118 offset1:181
	ds_read2_b32 v[14:15], v125 offset1:63
	ds_read2_b32 v[18:19], v109 offset0:120 offset1:183
	v_add_lshl_u32 v176, v20, v26, 2
	v_add_lshl_u32 v175, v21, v28, 2
	ds_read2_b32 v[20:21], v106 offset0:108 offset1:171
	ds_read_b32 v45, v125 offset:6552
	ds_read2_b32 v[22:23], v99 offset0:116 offset1:179
	ds_read2_b32 v[24:25], v125 offset0:126 offset1:189
	;; [unrolled: 1-line block ×8, first 2 shown]
	s_waitcnt vmcnt(0) lgkmcnt(0)
	s_barrier
	buffer_gl0_inv
	v_lshrrev_b32_e32 v54, 16, v20
	v_lshrrev_b32_e32 v55, 16, v21
	v_lshrrev_b32_e32 v56, 16, v22
	v_lshrrev_b32_e32 v59, 16, v23
	v_lshrrev_b32_e32 v46, 16, v1
	v_lshrrev_b32_e32 v48, 16, v2
	v_lshrrev_b32_e32 v49, 16, v12
	v_lshrrev_b32_e32 v51, 16, v19
	v_lshrrev_b32_e32 v53, 16, v13
	v_lshrrev_b32_e32 v60, 16, v28
	v_lshrrev_b32_e32 v97, 16, v29
	v_lshrrev_b32_e32 v98, 16, v30
	v_lshrrev_b32_e32 v111, 16, v31
	v_lshrrev_b32_e32 v112, 16, v34
	v_lshrrev_b32_e32 v52, 16, v14
	v_lshrrev_b32_e32 v50, 16, v15
	v_lshrrev_b32_e32 v58, 16, v24
	v_lshrrev_b32_e32 v115, 16, v36
	v_lshrrev_b32_e32 v57, 16, v25
	v_lshrrev_b32_e32 v108, 16, v27
	v_lshrrev_b32_e32 v110, 16, v26
	v_lshrrev_b32_e32 v113, 16, v32
	v_lshrrev_b32_e32 v114, 16, v35
	v_lshrrev_b32_e32 v116, 16, v33
	v_mul_f16_sdwa v117, v46, v62 dst_sel:DWORD dst_unused:UNUSED_PAD src0_sel:DWORD src1_sel:WORD_1
	v_mul_f16_sdwa v118, v48, v64 dst_sel:DWORD dst_unused:UNUSED_PAD src0_sel:DWORD src1_sel:WORD_1
	;; [unrolled: 1-line block ×20, first 2 shown]
	v_fma_f16 v1, v1, v62, -v117
	v_fma_f16 v2, v2, v64, -v118
	;; [unrolled: 1-line block ×3, first 2 shown]
	v_fmac_f16_e32 v119, v48, v64
	v_fmac_f16_e32 v121, v49, v63
	v_fmac_f16_e32 v120, v46, v62
	v_mul_f16_sdwa v164, v97, v72 dst_sel:DWORD dst_unused:UNUSED_PAD src0_sel:DWORD src1_sel:WORD_1
	v_mul_f16_sdwa v166, v98, v71 dst_sel:DWORD dst_unused:UNUSED_PAD src0_sel:DWORD src1_sel:WORD_1
	;; [unrolled: 1-line block ×8, first 2 shown]
	v_fmac_f16_e32 v171, v51, v61
	v_fma_f16 v19, v19, v61, -v179
	v_mul_f16_sdwa v202, v36, v75 dst_sel:DWORD dst_unused:UNUSED_PAD src0_sel:DWORD src1_sel:WORD_1
	v_fma_f16 v13, v13, v65, -v123
	v_fma_f16 v20, v20, v66, -v155
	v_fmac_f16_e32 v157, v55, v68
	v_fmac_f16_e32 v159, v56, v67
	;; [unrolled: 1-line block ×4, first 2 shown]
	v_mul_f16_sdwa v201, v35, v76 dst_sel:DWORD dst_unused:UNUSED_PAD src0_sel:DWORD src1_sel:WORD_1
	v_fma_f16 v21, v21, v68, -v156
	v_fma_f16 v22, v22, v67, -v160
	;; [unrolled: 1-line block ×7, first 2 shown]
	v_fmac_f16_e32 v162, v59, v69
	v_fmac_f16_e32 v165, v60, v70
	;; [unrolled: 1-line block ×6, first 2 shown]
	v_fma_f16 v34, v34, v74, -v199
	v_add_f16_e32 v46, v12, v2
	v_add_f16_e32 v49, v121, v119
	;; [unrolled: 1-line block ×6, first 2 shown]
	v_mul_f16_sdwa v203, v115, v75 dst_sel:DWORD dst_unused:UNUSED_PAD src0_sel:DWORD src1_sel:WORD_1
	v_fmac_f16_e32 v202, v115, v75
	v_add_f16_e32 v48, v15, v12
	v_add_f16_e32 v51, v50, v121
	v_sub_f16_e32 v53, v121, v119
	v_add_f16_e32 v111, v159, v157
	v_add_f16_e32 v115, v13, v20
	;; [unrolled: 1-line block ×5, first 2 shown]
	v_mul_f16_sdwa v200, v114, v76 dst_sel:DWORD dst_unused:UNUSED_PAD src0_sel:DWORD src1_sel:WORD_1
	v_fmac_f16_e32 v201, v114, v76
	v_sub_f16_e32 v12, v12, v2
	v_sub_f16_e32 v19, v19, v1
	;; [unrolled: 1-line block ×3, first 2 shown]
	v_add_f16_e32 v97, v22, v21
	v_add_f16_e32 v98, v25, v22
	;; [unrolled: 1-line block ×3, first 2 shown]
	v_sub_f16_e32 v114, v159, v157
	v_sub_f16_e32 v122, v124, v158
	v_add_f16_e32 v123, v30, v29
	v_add_f16_e32 v124, v27, v30
	;; [unrolled: 1-line block ×4, first 2 shown]
	v_sub_f16_e32 v159, v169, v168
	v_add_f16_e32 v160, v110, v162
	v_add_f16_e32 v161, v26, v23
	;; [unrolled: 1-line block ×5, first 2 shown]
	v_sub_f16_e32 v167, v170, v180
	v_add_f16_e32 v169, v170, v180
	v_add_f16_e32 v170, v32, v31
	;; [unrolled: 1-line block ×3, first 2 shown]
	v_fmac_f16_e32 v15, -0.5, v46
	v_fmac_f16_e32 v50, -0.5, v49
	v_add_f16_e32 v1, v55, v1
	v_add_f16_e32 v46, v56, v120
	v_fmac_f16_e32 v52, -0.5, v59
	v_fma_f16 v14, -0.5, v54, v14
	v_sub_f16_e32 v22, v22, v21
	v_sub_f16_e32 v13, v13, v20
	v_add_f16_e32 v2, v48, v2
	v_add_f16_e32 v48, v51, v119
	v_fmac_f16_e32 v57, -0.5, v111
	v_add_f16_e32 v20, v117, v20
	v_add_f16_e32 v49, v118, v158
	v_fmac_f16_e32 v58, -0.5, v121
	v_fma_f16 v24, -0.5, v115, v24
	v_fma_f16 v35, v35, v76, -v200
	v_fma_f16 v36, v36, v75, -v203
	v_sub_f16_e32 v30, v30, v29
	v_sub_f16_e32 v162, v162, v165
	;; [unrolled: 1-line block ×4, first 2 shown]
	v_fmac_f16_e32 v25, -0.5, v97
	v_add_f16_e32 v21, v98, v21
	v_add_f16_e32 v51, v112, v157
	v_fmac_f16_e32 v27, -0.5, v123
	v_fmac_f16_e32 v108, -0.5, v155
	v_add_f16_e32 v55, v160, v165
	v_add_f16_e32 v28, v161, v28
	v_fmac_f16_e32 v110, -0.5, v163
	v_add_f16_e32 v29, v124, v29
	v_add_f16_e32 v56, v156, v168
	;; [unrolled: 1-line block ×4, first 2 shown]
	v_fmac_f16_e32 v113, -0.5, v169
	v_fma_f16 v26, -0.5, v164, v26
	v_fma_f16 v32, -0.5, v171, v32
	v_fmamk_f16 v97, v53, 0x3aee, v15
	v_fmac_f16_e32 v15, 0xbaee, v53
	v_fmamk_f16 v53, v12, 0xbaee, v50
	v_fmac_f16_e32 v50, 0x3aee, v12
	v_pack_b32_f16 v1, v1, v46
	v_fmamk_f16 v12, v60, 0x3aee, v14
	v_fmamk_f16 v46, v19, 0xbaee, v52
	v_fmac_f16_e32 v14, 0xbaee, v60
	v_fmac_f16_e32 v52, 0x3aee, v19
	v_pack_b32_f16 v2, v2, v48
	v_fmamk_f16 v48, v22, 0xbaee, v57
	v_fmac_f16_e32 v57, 0x3aee, v22
	v_pack_b32_f16 v20, v20, v49
	v_fmamk_f16 v22, v122, 0x3aee, v24
	v_fmamk_f16 v49, v13, 0xbaee, v58
	v_add_f16_e32 v179, v36, v35
	v_add_f16_e32 v203, v202, v201
	v_fmamk_f16 v19, v114, 0x3aee, v25
	v_fmac_f16_e32 v25, 0xbaee, v114
	v_fmac_f16_e32 v24, 0xbaee, v122
	;; [unrolled: 1-line block ×3, first 2 shown]
	v_pack_b32_f16 v13, v21, v51
	v_fmamk_f16 v21, v159, 0x3aee, v27
	v_fmac_f16_e32 v27, 0xbaee, v159
	v_fmamk_f16 v51, v30, 0xbaee, v108
	v_fmac_f16_e32 v108, 0x3aee, v30
	v_pack_b32_f16 v28, v28, v55
	v_fmamk_f16 v30, v162, 0x3aee, v26
	v_fmamk_f16 v55, v23, 0xbaee, v110
	v_fmac_f16_e32 v26, 0xbaee, v162
	v_fmac_f16_e32 v110, 0x3aee, v23
	v_pack_b32_f16 v23, v29, v56
	v_pack_b32_f16 v29, v34, v59
	v_fmamk_f16 v34, v167, 0x3aee, v32
	v_fmamk_f16 v56, v31, 0xbaee, v113
	v_fmac_f16_e32 v32, 0xbaee, v167
	v_fmac_f16_e32 v113, 0x3aee, v31
	v_pack_b32_f16 v12, v12, v46
	v_pack_b32_f16 v14, v14, v52
	v_pack_b32_f16 v46, v97, v53
	v_pack_b32_f16 v15, v15, v50
	v_pack_b32_f16 v22, v22, v49
	v_add_f16_e32 v199, v33, v36
	v_add_f16_e32 v200, v116, v202
	v_sub_f16_e32 v202, v202, v201
	v_sub_f16_e32 v36, v36, v35
	v_fmac_f16_e32 v33, -0.5, v179
	v_fmac_f16_e32 v116, -0.5, v203
	v_pack_b32_f16 v25, v25, v57
	v_pack_b32_f16 v24, v24, v58
	;; [unrolled: 1-line block ×9, first 2 shown]
	ds_write2_b32 v178, v1, v12 offset1:9
	ds_write_b32 v178, v14 offset:72
	ds_write2_b32 v177, v2, v46 offset1:9
	ds_write_b32 v177, v15 offset:72
	;; [unrolled: 2-line block ×7, first 2 shown]
	v_mad_u16 v1, v38, 27, v39
	v_lshrrev_b32_e32 v2, 16, v37
	v_lshrrev_b32_e32 v12, 16, v45
	v_add_f16_e32 v54, v200, v201
	v_add_f16_e32 v35, v199, v35
	v_fmamk_f16 v31, v202, 0x3aee, v33
	v_fmamk_f16 v59, v36, 0xbaee, v116
	v_lshlrev_b32_sdwa v179, v3, v1 dst_sel:DWORD dst_unused:UNUSED_PAD src0_sel:DWORD src1_sel:WORD_0
	v_mul_f16_sdwa v1, v2, v77 dst_sel:DWORD dst_unused:UNUSED_PAD src0_sel:DWORD src1_sel:WORD_1
	v_mul_f16_sdwa v15, v12, v78 dst_sel:DWORD dst_unused:UNUSED_PAD src0_sel:DWORD src1_sel:WORD_1
	;; [unrolled: 1-line block ×4, first 2 shown]
	v_pack_b32_f16 v13, v35, v54
	v_pack_b32_f16 v14, v31, v59
	v_fma_f16 v1, v37, v77, -v1
	v_fma_f16 v15, v45, v78, -v15
	v_fmac_f16_e32 v19, v2, v77
	v_fmac_f16_e32 v20, v12, v78
	ds_write2_b32 v179, v13, v14 offset1:9
	v_lshrrev_b32_e32 v13, 16, v18
	v_add_f16_e32 v2, v1, v15
	v_add_f16_e32 v21, v18, v1
	;; [unrolled: 1-line block ×3, first 2 shown]
	v_sub_f16_e32 v1, v1, v15
	v_mov_b32_e32 v25, 0x2f69
	v_fmac_f16_e32 v18, -0.5, v2
	v_sub_f16_e32 v2, v19, v20
	v_add_f16_e32 v19, v13, v19
	v_fmac_f16_e32 v13, -0.5, v14
	v_mul_lo_u16 v14, v40, 19
	v_add_f16_e32 v15, v21, v15
	v_fmamk_f16 v22, v2, 0x3aee, v18
	v_fmac_f16_e32 v18, 0xbaee, v2
	v_lshrrev_b16 v2, 9, v0
	v_lshrrev_b16 v14, 9, v14
	v_add_f16_e32 v19, v19, v20
	v_fmamk_f16 v0, v1, 0xbaee, v13
	v_fmac_f16_e32 v33, 0xbaee, v202
	v_mul_lo_u16 v20, v2, 27
	v_mul_lo_u16 v21, v14, 27
	v_fmac_f16_e32 v116, 0x3aee, v36
	v_fmac_f16_e32 v13, 0x3aee, v1
	v_mad_u16 v1, v41, 27, v42
	v_pack_b32_f16 v15, v15, v19
	v_sub_nc_u16 v19, v4, v20
	v_sub_nc_u16 v20, v11, v21
	v_mul_u32_u24_sdwa v21, v9, v25 dst_sel:DWORD dst_unused:UNUSED_PAD src0_sel:WORD_0 src1_sel:DWORD
	v_pack_b32_f16 v0, v22, v0
	v_mul_u32_u24_sdwa v22, v8, v25 dst_sel:DWORD dst_unused:UNUSED_PAD src0_sel:WORD_0 src1_sel:DWORD
	v_pack_b32_f16 v12, v33, v116
	v_lshlrev_b32_sdwa v180, v3, v1 dst_sel:DWORD dst_unused:UNUSED_PAD src0_sel:DWORD src1_sel:WORD_0
	v_pack_b32_f16 v1, v18, v13
	v_lshrrev_b32_e32 v13, 16, v21
	v_and_b32_e32 v18, 0xff, v19
	v_lshrrev_b32_e32 v19, 16, v22
	ds_write_b32 v179, v12 offset:72
	ds_write2_b32 v180, v15, v0 offset1:9
	ds_write_b32 v180, v1 offset:72
	v_sub_nc_u16 v0, v9, v13
	v_mul_lo_u16 v1, v44, 19
	v_sub_nc_u16 v12, v8, v19
	v_mul_lo_u16 v15, v43, 19
	v_and_b32_e32 v21, 0xff, v20
	v_lshrrev_b16 v0, 1, v0
	v_lshrrev_b16 v22, 9, v1
	;; [unrolled: 1-line block ×4, first 2 shown]
	v_lshlrev_b32_e32 v20, 3, v18
	v_add_nc_u16 v0, v0, v13
	v_mul_lo_u16 v13, v22, 27
	v_add_nc_u16 v1, v12, v19
	v_mul_lo_u16 v19, v15, 27
	v_lshlrev_b32_e32 v12, 3, v21
	v_lshrrev_b16 v26, 4, v0
	v_sub_nc_u16 v0, v10, v13
	v_lshrrev_b16 v48, 4, v1
	v_sub_nc_u16 v1, v17, v19
	s_waitcnt lgkmcnt(0)
	v_mul_lo_u16 v13, v26, 27
	v_and_b32_e32 v29, 0xff, v0
	v_mul_lo_u16 v19, v48, 27
	v_and_b32_e32 v30, 0xff, v1
	s_barrier
	v_sub_nc_u16 v31, v9, v13
	buffer_gl0_inv
	v_sub_nc_u16 v97, v8, v19
	v_lshlrev_b32_e32 v0, 3, v29
	s_clause 0x1
	global_load_dwordx2 v[19:20], v20, s[14:15] offset:96
	global_load_dwordx2 v[23:24], v12, s[14:15] offset:96
	v_lshlrev_b16 v13, 3, v31
	v_lshlrev_b32_e32 v1, 3, v30
	v_lshlrev_b16 v32, 3, v97
	s_clause 0x1
	global_load_dwordx2 v[27:28], v0, s[14:15] offset:96
	global_load_dwordx2 v[33:34], v1, s[14:15] offset:96
	v_and_b32_e32 v12, 0xffff, v13
	v_and_b32_e32 v13, 0xffff, v32
	v_add_co_u32 v0, s0, s14, v12
	v_add_co_ci_u32_e64 v1, null, s15, 0, s0
	v_add_co_u32 v12, s0, s14, v13
	v_add_co_ci_u32_e64 v13, null, s15, 0, s0
	s_clause 0x1
	global_load_dwordx2 v[37:38], v[0:1], off offset:96
	global_load_dwordx2 v[39:40], v[12:13], off offset:96
	v_mul_u32_u24_sdwa v0, v7, v25 dst_sel:DWORD dst_unused:UNUSED_PAD src0_sel:WORD_0 src1_sel:DWORD
	v_lshrrev_b32_e32 v0, 16, v0
	v_sub_nc_u16 v1, v7, v0
	v_lshrrev_b16 v1, 1, v1
	v_add_nc_u16 v0, v1, v0
	v_lshrrev_b16 v98, 4, v0
	v_mul_u32_u24_sdwa v0, v6, v25 dst_sel:DWORD dst_unused:UNUSED_PAD src0_sel:WORD_0 src1_sel:DWORD
	v_mul_lo_u16 v1, v98, 27
	v_lshrrev_b32_e32 v0, 16, v0
	v_sub_nc_u16 v108, v7, v1
	v_sub_nc_u16 v1, v6, v0
	v_lshlrev_b16 v12, 3, v108
	v_lshrrev_b16 v1, 1, v1
	v_and_b32_e32 v12, 0xffff, v12
	v_add_nc_u16 v13, v1, v0
	v_add_co_u32 v0, s0, s14, v12
	v_add_co_ci_u32_e64 v1, null, s15, 0, s0
	v_lshrrev_b16 v110, 4, v13
	global_load_dwordx2 v[41:42], v[0:1], off offset:96
	v_mul_u32_u24_sdwa v1, v5, v25 dst_sel:DWORD dst_unused:UNUSED_PAD src0_sel:WORD_0 src1_sel:DWORD
	v_mul_lo_u16 v0, v110, 27
	v_lshrrev_b32_e32 v12, 16, v1
	v_sub_nc_u16 v111, v6, v0
	v_sub_nc_u16 v1, v5, v12
	v_lshlrev_b16 v0, 3, v111
	v_lshrrev_b16 v13, 1, v1
	v_and_b32_e32 v0, 0xffff, v0
	v_add_nc_u16 v12, v13, v12
	v_add_co_u32 v0, s0, s14, v0
	v_add_co_ci_u32_e64 v1, null, s15, 0, s0
	v_lshrrev_b16 v112, 4, v12
	global_load_dwordx2 v[45:46], v[0:1], off offset:96
	v_mul_lo_u16 v0, v112, 27
	v_sub_nc_u16 v113, v5, v0
	v_lshlrev_b16 v0, 3, v113
	v_and_b32_e32 v0, 0xffff, v0
	v_add_co_u32 v0, s0, s14, v0
	v_add_co_ci_u32_e64 v1, null, s15, 0, s0
	global_load_dwordx2 v[49:50], v[0:1], off offset:96
	v_mul_lo_u16 v0, 0x51, v2
	v_mov_b32_e32 v1, 0x51
	v_and_b32_e32 v0, 0xff, v0
	v_mul_u32_u24_sdwa v2, v14, v1 dst_sel:DWORD dst_unused:UNUSED_PAD src0_sel:WORD_0 src1_sel:DWORD
	v_mul_u32_u24_sdwa v12, v22, v1 dst_sel:DWORD dst_unused:UNUSED_PAD src0_sel:WORD_0 src1_sel:DWORD
	;; [unrolled: 1-line block ×3, first 2 shown]
	v_add_lshl_u32 v160, v0, v18, 2
	v_add_lshl_u32 v158, v2, v21, 2
	;; [unrolled: 1-line block ×3, first 2 shown]
	ds_read2_b32 v[12:13], v101 offset0:110 offset1:173
	ds_read2_b32 v[14:15], v102 offset0:118 offset1:181
	ds_read2_b32 v[21:22], v125 offset1:63
	ds_read2_b32 v[0:1], v109 offset0:120 offset1:183
	v_mad_u16 v2, 0x51, v26, v31
	v_add_lshl_u32 v156, v25, v30, 2
	v_lshlrev_b32_sdwa v155, v3, v2 dst_sel:DWORD dst_unused:UNUSED_PAD src0_sel:DWORD src1_sel:WORD_0
	ds_read2_b32 v[25:26], v106 offset0:108 offset1:171
	ds_read_b32 v2, v125 offset:6552
	ds_read2_b32 v[29:30], v99 offset0:116 offset1:179
	ds_read2_b32 v[31:32], v125 offset0:126 offset1:189
	;; [unrolled: 1-line block ×8, first 2 shown]
	s_waitcnt vmcnt(0) lgkmcnt(0)
	s_barrier
	buffer_gl0_inv
	v_lshrrev_b32_e32 v115, 16, v14
	v_lshrrev_b32_e32 v18, 16, v12
	;; [unrolled: 1-line block ×18, first 2 shown]
	v_mul_f16_sdwa v166, v18, v20 dst_sel:DWORD dst_unused:UNUSED_PAD src0_sel:DWORD src1_sel:WORD_1
	v_mul_f16_sdwa v167, v114, v24 dst_sel:DWORD dst_unused:UNUSED_PAD src0_sel:DWORD src1_sel:WORD_1
	;; [unrolled: 1-line block ×16, first 2 shown]
	v_fma_f16 v12, v12, v20, -v166
	v_fma_f16 v13, v13, v24, -v167
	v_fmac_f16_e32 v168, v18, v20
	v_fma_f16 v14, v14, v23, -v171
	v_fmac_f16_e32 v169, v114, v24
	v_fmac_f16_e32 v170, v115, v23
	v_mul_f16_sdwa v208, v123, v37 dst_sel:DWORD dst_unused:UNUSED_PAD src0_sel:DWORD src1_sel:WORD_1
	v_mul_f16_sdwa v210, v30, v37 dst_sel:DWORD dst_unused:UNUSED_PAD src0_sel:DWORD src1_sel:WORD_1
	;; [unrolled: 1-line block ×6, first 2 shown]
	v_fmac_f16_e32 v199, v117, v19
	v_fma_f16 v1, v1, v19, -v200
	v_fma_f16 v15, v15, v27, -v201
	;; [unrolled: 1-line block ×3, first 2 shown]
	v_fmac_f16_e32 v205, v121, v34
	v_fmac_f16_e32 v209, v122, v33
	;; [unrolled: 1-line block ×4, first 2 shown]
	v_mul_f16_sdwa v214, v36, v40 dst_sel:DWORD dst_unused:UNUSED_PAD src0_sel:DWORD src1_sel:WORD_1
	v_mul_f16_sdwa v215, v53, v39 dst_sel:DWORD dst_unused:UNUSED_PAD src0_sel:DWORD src1_sel:WORD_1
	v_fma_f16 v25, v26, v34, -v204
	v_fma_f16 v26, v29, v33, -v207
	;; [unrolled: 1-line block ×5, first 2 shown]
	v_fmac_f16_e32 v210, v123, v37
	v_fmac_f16_e32 v213, v124, v38
	v_fma_f16 v36, v53, v39, -v216
	v_add_f16_e32 v53, v14, v13
	v_add_f16_e32 v115, v170, v169
	;; [unrolled: 1-line block ×7, first 2 shown]
	v_sub_f16_e32 v124, v199, v168
	v_add_f16_e32 v166, v209, v205
	v_add_f16_e32 v171, v15, v18
	;; [unrolled: 1-line block ×5, first 2 shown]
	v_fmac_f16_e32 v214, v159, v40
	v_fmac_f16_e32 v215, v164, v39
	v_sub_f16_e32 v119, v170, v169
	v_sub_f16_e32 v14, v14, v13
	v_add_f16_e32 v121, v21, v1
	v_sub_f16_e32 v1, v1, v12
	v_add_f16_e32 v159, v26, v25
	v_add_f16_e32 v164, v32, v26
	;; [unrolled: 1-line block ×3, first 2 shown]
	v_sub_f16_e32 v170, v209, v205
	v_add_f16_e32 v203, v163, v210
	v_add_f16_e32 v207, v210, v213
	;; [unrolled: 1-line block ×4, first 2 shown]
	v_fmac_f16_e32 v22, -0.5, v53
	v_fmac_f16_e32 v116, -0.5, v115
	v_fma_f16 v21, -0.5, v120, v21
	v_fmac_f16_e32 v118, -0.5, v123
	v_sub_f16_e32 v26, v26, v25
	v_sub_f16_e32 v15, v15, v18
	;; [unrolled: 1-line block ×3, first 2 shown]
	v_fmac_f16_e32 v161, -0.5, v166
	v_fma_f16 v31, -0.5, v171, v31
	v_add_f16_e32 v13, v114, v13
	v_add_f16_e32 v114, v117, v169
	;; [unrolled: 1-line block ×4, first 2 shown]
	v_fmac_f16_e32 v162, -0.5, v201
	v_sub_f16_e32 v204, v210, v213
	v_sub_f16_e32 v29, v29, v30
	v_add_f16_e32 v12, v121, v12
	v_add_f16_e32 v53, v122, v168
	v_fmac_f16_e32 v32, -0.5, v159
	v_add_f16_e32 v25, v164, v25
	v_add_f16_e32 v117, v167, v205
	;; [unrolled: 1-line block ×4, first 2 shown]
	v_fmac_f16_e32 v163, -0.5, v207
	v_fma_f16 v51, -0.5, v209, v51
	v_fmamk_f16 v122, v119, 0x3aee, v22
	v_fmac_f16_e32 v22, 0xbaee, v119
	v_fmamk_f16 v119, v14, 0xbaee, v116
	v_fmac_f16_e32 v116, 0x3aee, v14
	v_fmamk_f16 v14, v124, 0x3aee, v21
	v_fmamk_f16 v123, v1, 0xbaee, v118
	v_fmac_f16_e32 v21, 0xbaee, v124
	v_fmac_f16_e32 v118, 0x3aee, v1
	v_fmamk_f16 v159, v26, 0xbaee, v161
	v_fmac_f16_e32 v161, 0x3aee, v26
	v_pack_b32_f16 v1, v13, v114
	v_pack_b32_f16 v13, v18, v115
	v_fmamk_f16 v18, v202, 0x3aee, v31
	v_fmamk_f16 v26, v15, 0xbaee, v162
	v_pack_b32_f16 v12, v12, v53
	v_fmamk_f16 v53, v170, 0x3aee, v32
	v_fmac_f16_e32 v32, 0xbaee, v170
	v_fmac_f16_e32 v31, 0xbaee, v202
	;; [unrolled: 1-line block ×3, first 2 shown]
	v_pack_b32_f16 v15, v25, v117
	v_pack_b32_f16 v25, v30, v120
	v_fmamk_f16 v30, v204, 0x3aee, v51
	v_fmamk_f16 v114, v29, 0xbaee, v163
	v_pack_b32_f16 v14, v14, v123
	v_pack_b32_f16 v21, v21, v118
	;; [unrolled: 1-line block ×5, first 2 shown]
	v_add_f16_e32 v210, v36, v35
	v_add_f16_e32 v216, v215, v214
	v_fmac_f16_e32 v51, 0xbaee, v204
	v_fmac_f16_e32 v163, 0x3aee, v29
	v_pack_b32_f16 v32, v32, v161
	v_pack_b32_f16 v26, v31, v162
	;; [unrolled: 1-line block ×4, first 2 shown]
	ds_write2_b32 v160, v12, v14 offset1:27
	ds_write_b32 v160, v21 offset:216
	ds_write2_b32 v158, v1, v115 offset1:27
	ds_write_b32 v158, v22 offset:216
	;; [unrolled: 2-line block ×4, first 2 shown]
	ds_write2_b32 v155, v25, v30 offset1:27
	v_mad_u16 v12, 0x51, v48, v97
	v_add_f16_e32 v211, v52, v36
	v_add_f16_e32 v212, v165, v215
	v_sub_f16_e32 v215, v215, v214
	v_sub_f16_e32 v36, v36, v35
	v_fmac_f16_e32 v52, -0.5, v210
	v_fmac_f16_e32 v165, -0.5, v216
	v_pack_b32_f16 v51, v51, v163
	v_lshrrev_b32_e32 v14, 16, v54
	v_lshlrev_b32_sdwa v163, v3, v12 dst_sel:DWORD dst_unused:UNUSED_PAD src0_sel:DWORD src1_sel:WORD_0
	v_lshrrev_b32_e32 v12, 16, v57
	v_add_f16_e32 v121, v212, v214
	v_add_f16_e32 v35, v211, v35
	v_fmamk_f16 v29, v215, 0x3aee, v52
	v_fmamk_f16 v1, v36, 0xbaee, v165
	v_mul_f16_sdwa v15, v14, v41 dst_sel:DWORD dst_unused:UNUSED_PAD src0_sel:DWORD src1_sel:WORD_1
	v_mul_f16_sdwa v18, v54, v41 dst_sel:DWORD dst_unused:UNUSED_PAD src0_sel:DWORD src1_sel:WORD_1
	;; [unrolled: 1-line block ×4, first 2 shown]
	v_pack_b32_f16 v13, v35, v121
	v_pack_b32_f16 v1, v29, v1
	v_fma_f16 v15, v54, v41, -v15
	v_fmac_f16_e32 v18, v14, v41
	v_fma_f16 v21, v57, v42, -v21
	v_fmac_f16_e32 v22, v12, v42
	ds_write_b32 v155, v51 offset:216
	v_fmac_f16_e32 v52, 0xbaee, v215
	v_fmac_f16_e32 v165, 0x3aee, v36
	v_lshrrev_b32_e32 v14, 16, v55
	ds_write2_b32 v163, v13, v1 offset1:27
	v_add_f16_e32 v13, v15, v21
	v_add_f16_e32 v25, v18, v22
	v_pack_b32_f16 v1, v52, v165
	v_add_f16_e32 v12, v14, v18
	v_sub_f16_e32 v18, v18, v22
	v_add_f16_e32 v26, v55, v15
	v_fma_f16 v13, -0.5, v13, v55
	v_fmac_f16_e32 v14, -0.5, v25
	v_sub_f16_e32 v15, v15, v21
	v_add_f16_e32 v12, v12, v22
	v_add_f16_e32 v21, v26, v21
	ds_write_b32 v163, v1 offset:216
	v_fmamk_f16 v1, v18, 0x3aee, v13
	v_lshrrev_b32_e32 v22, 16, v58
	v_fmamk_f16 v25, v15, 0xbaee, v14
	v_lshrrev_b32_e32 v26, 16, v59
	v_mad_u16 v29, 0x51, v98, v108
	v_pack_b32_f16 v12, v21, v12
	v_mul_f16_sdwa v21, v22, v46 dst_sel:DWORD dst_unused:UNUSED_PAD src0_sel:DWORD src1_sel:WORD_1
	v_pack_b32_f16 v1, v1, v25
	v_mul_f16_sdwa v25, v26, v45 dst_sel:DWORD dst_unused:UNUSED_PAD src0_sel:DWORD src1_sel:WORD_1
	v_lshlrev_b32_sdwa v162, v3, v29 dst_sel:DWORD dst_unused:UNUSED_PAD src0_sel:DWORD src1_sel:WORD_0
	v_mul_f16_sdwa v29, v58, v46 dst_sel:DWORD dst_unused:UNUSED_PAD src0_sel:DWORD src1_sel:WORD_1
	v_mul_f16_sdwa v30, v59, v45 dst_sel:DWORD dst_unused:UNUSED_PAD src0_sel:DWORD src1_sel:WORD_1
	v_fma_f16 v21, v58, v46, -v21
	v_fma_f16 v25, v59, v45, -v25
	ds_write2_b32 v162, v12, v1 offset1:27
	v_fmac_f16_e32 v29, v22, v46
	v_fmac_f16_e32 v30, v26, v45
	;; [unrolled: 1-line block ×3, first 2 shown]
	v_add_f16_e32 v1, v25, v21
	v_lshrrev_b32_e32 v18, 16, v56
	v_fmac_f16_e32 v14, 0x3aee, v15
	v_add_f16_e32 v15, v30, v29
	v_add_f16_e32 v12, v56, v25
	v_fmac_f16_e32 v56, -0.5, v1
	v_add_f16_e32 v1, v18, v30
	v_sub_f16_e32 v22, v30, v29
	v_pack_b32_f16 v13, v13, v14
	v_fmac_f16_e32 v18, -0.5, v15
	v_sub_f16_e32 v14, v25, v21
	v_add_f16_e32 v1, v1, v29
	v_add_f16_e32 v12, v12, v21
	ds_write_b32 v162, v13 offset:216
	v_fmamk_f16 v13, v22, 0x3aee, v56
	v_fmamk_f16 v15, v14, 0xbaee, v18
	v_lshrrev_b32_e32 v25, 16, v60
	v_lshrrev_b32_e32 v26, 16, v2
	v_pack_b32_f16 v12, v12, v1
	v_fmac_f16_e32 v56, 0xbaee, v22
	v_pack_b32_f16 v13, v13, v15
	v_mul_f16_sdwa v1, v25, v49 dst_sel:DWORD dst_unused:UNUSED_PAD src0_sel:DWORD src1_sel:WORD_1
	v_mul_f16_sdwa v15, v26, v50 dst_sel:DWORD dst_unused:UNUSED_PAD src0_sel:DWORD src1_sel:WORD_1
	;; [unrolled: 1-line block ×4, first 2 shown]
	v_mad_u16 v21, 0x51, v110, v111
	v_fma_f16 v1, v60, v49, -v1
	v_fma_f16 v2, v2, v50, -v15
	v_fmac_f16_e32 v22, v25, v49
	v_fmac_f16_e32 v29, v26, v50
	;; [unrolled: 1-line block ×3, first 2 shown]
	v_lshrrev_b32_e32 v14, 16, v0
	v_lshlrev_b32_sdwa v165, v3, v21 dst_sel:DWORD dst_unused:UNUSED_PAD src0_sel:DWORD src1_sel:WORD_0
	v_add_f16_e32 v21, v1, v2
	v_add_f16_e32 v25, v22, v29
	v_pack_b32_f16 v15, v56, v18
	v_add_f16_e32 v18, v14, v22
	v_add_f16_e32 v26, v0, v1
	v_fmac_f16_e32 v0, -0.5, v21
	v_sub_f16_e32 v21, v22, v29
	v_fmac_f16_e32 v14, -0.5, v25
	v_sub_f16_e32 v25, v1, v2
	v_add_co_u32 v1, s0, 0xffffffee, v151
	v_add_f16_e32 v18, v18, v29
	v_add_f16_e32 v22, v26, v2
	v_add_co_ci_u32_e64 v2, null, 0, -1, s0
	v_fmamk_f16 v26, v21, 0x3aee, v0
	v_fmamk_f16 v29, v25, 0xbaee, v14
	v_cndmask_b32_e32 v1, v1, v11, vcc_lo
	v_cndmask_b32_e32 v2, v2, v47, vcc_lo
	v_pack_b32_f16 v18, v22, v18
	v_fmac_f16_e32 v0, 0xbaee, v21
	v_pack_b32_f16 v11, v26, v29
	v_mov_b32_e32 v29, 0x6523
	v_fmac_f16_e32 v14, 0x3aee, v25
	v_lshlrev_b64 v[21:22], 3, v[1:2]
	v_mul_lo_u16 v2, 0xcb, v44
	ds_write2_b32 v165, v12, v13 offset1:27
	ds_write_b32 v165, v15 offset:216
	v_mul_u32_u24_sdwa v12, v9, v29 dst_sel:DWORD dst_unused:UNUSED_PAD src0_sel:WORD_0 src1_sel:DWORD
	v_pack_b32_f16 v0, v0, v14
	v_mad_u16 v30, 0x51, v112, v113
	v_lshrrev_b16 v2, 14, v2
	v_mul_lo_u16 v13, 0xcb, v43
	v_lshrrev_b32_e32 v14, 21, v12
	v_lshlrev_b32_sdwa v168, v3, v30 dst_sel:DWORD dst_unused:UNUSED_PAD src0_sel:DWORD src1_sel:WORD_0
	v_mul_lo_u16 v15, 0x51, v2
	v_lshrrev_b16 v13, 14, v13
	v_mul_lo_u16 v14, 0x51, v14
	ds_write2_b32 v168, v18, v11 offset1:27
	v_sub_nc_u16 v10, v10, v15
	v_add_co_u32 v11, vcc_lo, s14, v21
	v_sub_nc_u16 v15, v9, v14
	v_mul_lo_u16 v21, 0x51, v13
	ds_write_b32 v168, v0 offset:216
	v_and_b32_e32 v14, 0xff, v10
	v_lshlrev_b32_e32 v18, 3, v151
	v_lshlrev_b16 v9, 3, v15
	v_sub_nc_u16 v0, v17, v21
	v_add_co_ci_u32_e32 v12, vcc_lo, s15, v22, vcc_lo
	s_waitcnt lgkmcnt(0)
	v_and_b32_e32 v9, 0xffff, v9
	v_and_b32_e32 v30, 0xff, v0
	v_lshlrev_b32_e32 v0, 3, v14
	s_barrier
	buffer_gl0_inv
	v_add_co_u32 v9, s0, s14, v9
	s_clause 0x2
	global_load_dwordx2 v[21:22], v18, s[14:15] offset:312
	global_load_dwordx2 v[25:26], v[11:12], off offset:312
	global_load_dwordx2 v[43:44], v0, s[14:15] offset:312
	v_lshlrev_b32_e32 v0, 3, v30
	v_add_co_ci_u32_e64 v10, null, s15, 0, s0
	s_clause 0x1
	global_load_dwordx2 v[47:48], v0, s[14:15] offset:312
	global_load_dwordx2 v[51:52], v[9:10], off offset:312
	v_mul_u32_u24_sdwa v0, v8, v29 dst_sel:DWORD dst_unused:UNUSED_PAD src0_sel:WORD_0 src1_sel:DWORD
	v_mul_u32_u24_sdwa v10, v7, v29 dst_sel:DWORD dst_unused:UNUSED_PAD src0_sel:WORD_0 src1_sel:DWORD
	v_cmp_lt_u16_e32 vcc_lo, 17, v4
	v_lshrrev_b32_e32 v18, 21, v0
	v_lshrrev_b32_e32 v114, 21, v10
	v_mul_lo_u16 v0, 0x51, v18
	v_sub_nc_u16 v108, v8, v0
	v_lshlrev_b16 v0, 3, v108
	v_and_b32_e32 v0, 0xffff, v0
	v_add_co_u32 v8, s0, s14, v0
	v_mul_lo_u16 v0, 0x51, v114
	v_add_co_ci_u32_e64 v9, null, s15, 0, s0
	v_sub_nc_u16 v115, v7, v0
	global_load_dwordx2 v[53:54], v[8:9], off offset:312
	v_lshlrev_b16 v0, 3, v115
	v_and_b32_e32 v0, 0xffff, v0
	v_add_co_u32 v7, s0, s14, v0
	v_mul_u32_u24_sdwa v0, v6, v29 dst_sel:DWORD dst_unused:UNUSED_PAD src0_sel:WORD_0 src1_sel:DWORD
	v_add_co_ci_u32_e64 v8, null, s15, 0, s0
	v_lshrrev_b32_e32 v116, 21, v0
	global_load_dwordx2 v[55:56], v[7:8], off offset:312
	v_mul_u32_u24_sdwa v8, v5, v29 dst_sel:DWORD dst_unused:UNUSED_PAD src0_sel:WORD_0 src1_sel:DWORD
	v_mul_lo_u16 v0, 0x51, v116
	v_sub_nc_u16 v117, v6, v0
	v_lshlrev_b16 v0, 3, v117
	v_and_b32_e32 v0, 0xffff, v0
	v_add_co_u32 v6, s0, s14, v0
	v_lshrrev_b32_e32 v0, 21, v8
	v_add_co_ci_u32_e64 v7, null, s15, 0, s0
	v_mul_lo_u16 v0, 0x51, v0
	global_load_dwordx2 v[57:58], v[6:7], off offset:312
	v_sub_nc_u16 v118, v5, v0
	v_lshlrev_b16 v0, 3, v118
	v_and_b32_e32 v0, 0xffff, v0
	v_add_co_u32 v5, s0, s14, v0
	v_add_co_ci_u32_e64 v6, null, s15, 0, s0
	v_cndmask_b32_e64 v0, 0, 0xf3, vcc_lo
	v_cmp_gt_u16_e32 vcc_lo, 54, v4
	global_load_dwordx2 v[59:60], v[5:6], off offset:312
	v_mov_b32_e32 v5, 0xf3
	v_add_lshl_u32 v164, v1, v0, 2
	ds_read2_b32 v[0:1], v101 offset0:110 offset1:173
	v_mul_u32_u24_sdwa v2, v2, v5 dst_sel:DWORD dst_unused:UNUSED_PAD src0_sel:WORD_0 src1_sel:DWORD
	v_mul_u32_u24_sdwa v9, v13, v5 dst_sel:DWORD dst_unused:UNUSED_PAD src0_sel:WORD_0 src1_sel:DWORD
	ds_read2_b32 v[5:6], v102 offset0:118 offset1:181
	ds_read2_b32 v[7:8], v125 offset1:63
	ds_read2_b32 v[97:98], v109 offset0:120 offset1:183
	v_add_lshl_u32 v161, v2, v14, 2
	v_add_lshl_u32 v159, v9, v30, 2
	ds_read2_b32 v[9:10], v106 offset0:108 offset1:171
	ds_read2_b32 v[11:12], v99 offset0:116 offset1:179
	;; [unrolled: 1-line block ×5, first 2 shown]
	ds_read_b32 v2, v125 offset:6552
	ds_read2_b32 v[35:36], v103 offset0:106 offset1:169
	ds_read2_b32 v[110:111], v104 offset0:114 offset1:177
	;; [unrolled: 1-line block ×4, first 2 shown]
	s_waitcnt vmcnt(0) lgkmcnt(0)
	s_barrier
	buffer_gl0_inv
	v_lshrrev_b32_e32 v105, 16, v0
	v_lshrrev_b32_e32 v119, 16, v1
	v_lshrrev_b32_e32 v166, 16, v9
	v_lshrrev_b32_e32 v120, 16, v5
	v_lshrrev_b32_e32 v124, 16, v6
	v_lshrrev_b32_e32 v122, 16, v98
	v_lshrrev_b32_e32 v167, 16, v10
	v_lshrrev_b32_e32 v169, 16, v11
	v_lshrrev_b32_e32 v121, 16, v8
	v_lshrrev_b32_e32 v123, 16, v7
	v_lshrrev_b32_e32 v199, 16, v12
	v_lshrrev_b32_e32 v200, 16, v35
	v_lshrrev_b32_e32 v170, 16, v30
	v_lshrrev_b32_e32 v171, 16, v29
	v_lshrrev_b32_e32 v201, 16, v13
	v_mul_f16_sdwa v202, v105, v22 dst_sel:DWORD dst_unused:UNUSED_PAD src0_sel:DWORD src1_sel:WORD_1
	v_mul_f16_sdwa v203, v119, v26 dst_sel:DWORD dst_unused:UNUSED_PAD src0_sel:DWORD src1_sel:WORD_1
	;; [unrolled: 1-line block ×16, first 2 shown]
	v_fma_f16 v0, v0, v22, -v202
	v_fma_f16 v1, v1, v26, -v203
	v_fmac_f16_e32 v204, v105, v22
	v_fma_f16 v5, v5, v25, -v207
	v_fmac_f16_e32 v205, v119, v26
	v_fmac_f16_e32 v206, v120, v25
	;; [unrolled: 1-line block ×3, first 2 shown]
	v_fma_f16 v98, v98, v21, -v209
	v_mul_f16_sdwa v219, v12, v51 dst_sel:DWORD dst_unused:UNUSED_PAD src0_sel:DWORD src1_sel:WORD_1
	v_fma_f16 v6, v6, v43, -v210
	v_fma_f16 v9, v9, v44, -v212
	v_fmac_f16_e32 v214, v167, v48
	v_fmac_f16_e32 v216, v169, v47
	;; [unrolled: 1-line block ×4, first 2 shown]
	v_mul_f16_sdwa v220, v35, v52 dst_sel:DWORD dst_unused:UNUSED_PAD src0_sel:DWORD src1_sel:WORD_1
	v_fma_f16 v10, v10, v48, -v213
	v_fma_f16 v11, v11, v47, -v217
	v_add_f16_e32 v105, v5, v1
	v_add_f16_e32 v120, v206, v205
	;; [unrolled: 1-line block ×4, first 2 shown]
	v_mul_f16_sdwa v218, v199, v51 dst_sel:DWORD dst_unused:UNUSED_PAD src0_sel:DWORD src1_sel:WORD_1
	v_fmac_f16_e32 v219, v199, v51
	v_add_f16_e32 v119, v8, v5
	v_add_f16_e32 v122, v121, v206
	v_sub_f16_e32 v124, v206, v205
	v_add_f16_e32 v166, v7, v98
	v_add_f16_e32 v199, v123, v208
	;; [unrolled: 1-line block ×5, first 2 shown]
	v_mul_f16_sdwa v221, v200, v52 dst_sel:DWORD dst_unused:UNUSED_PAD src0_sel:DWORD src1_sel:WORD_1
	v_fmac_f16_e32 v220, v200, v52
	v_sub_f16_e32 v5, v5, v1
	v_sub_f16_e32 v98, v98, v0
	;; [unrolled: 1-line block ×3, first 2 shown]
	v_add_f16_e32 v202, v11, v10
	v_fmac_f16_e32 v8, -0.5, v105
	v_fmac_f16_e32 v121, -0.5, v120
	v_fma_f16 v7, -0.5, v167, v7
	v_fmac_f16_e32 v123, -0.5, v169
	v_add_f16_e32 v203, v30, v11
	v_add_f16_e32 v207, v170, v216
	v_sub_f16_e32 v11, v11, v10
	v_add_f16_e32 v210, v29, v6
	v_sub_f16_e32 v6, v6, v9
	;; [unrolled: 2-line block ×3, first 2 shown]
	v_add_f16_e32 v0, v166, v0
	v_add_f16_e32 v105, v199, v204
	;; [unrolled: 1-line block ×4, first 2 shown]
	v_fmac_f16_e32 v170, -0.5, v206
	v_fma_f16 v29, -0.5, v209, v29
	v_fmac_f16_e32 v171, -0.5, v213
	v_sub_f16_e32 v208, v216, v214
	v_fmac_f16_e32 v30, -0.5, v202
	v_fmamk_f16 v166, v124, 0x3aee, v8
	v_fmac_f16_e32 v8, 0xbaee, v124
	v_fmamk_f16 v124, v5, 0xbaee, v121
	v_fmac_f16_e32 v121, 0x3aee, v5
	v_fmamk_f16 v5, v200, 0x3aee, v7
	v_fmamk_f16 v167, v98, 0xbaee, v123
	v_fmac_f16_e32 v7, 0xbaee, v200
	v_fmac_f16_e32 v123, 0x3aee, v98
	v_add_f16_e32 v10, v203, v10
	v_add_f16_e32 v122, v207, v214
	;; [unrolled: 1-line block ×4, first 2 shown]
	v_pack_b32_f16 v0, v0, v105
	v_pack_b32_f16 v1, v1, v119
	v_fmamk_f16 v105, v11, 0xbaee, v170
	v_fmac_f16_e32 v170, 0x3aee, v11
	v_fmamk_f16 v11, v211, 0x3aee, v29
	v_fmamk_f16 v119, v6, 0xbaee, v171
	v_fma_f16 v12, v12, v51, -v218
	v_fma_f16 v35, v35, v52, -v221
	v_fmamk_f16 v98, v208, 0x3aee, v30
	v_fmac_f16_e32 v29, 0xbaee, v211
	v_fmac_f16_e32 v171, 0x3aee, v6
	v_pack_b32_f16 v5, v5, v167
	v_pack_b32_f16 v7, v7, v123
	;; [unrolled: 1-line block ×9, first 2 shown]
	ds_write2_b32 v125, v0, v5 offset1:81
	ds_write_b32 v125, v7 offset:648
	ds_write2_b32 v164, v1, v10 offset1:81
	ds_write_b32 v164, v8 offset:648
	;; [unrolled: 2-line block ×3, first 2 shown]
	ds_write2_b32 v159, v6, v98 offset1:81
	v_add_f16_e32 v1, v12, v35
	v_add_f16_e32 v5, v219, v220
	v_add_f16_e32 v0, v201, v219
	v_sub_f16_e32 v6, v219, v220
	v_add_f16_e32 v7, v13, v12
	v_fma_f16 v1, -0.5, v1, v13
	v_fmac_f16_e32 v201, -0.5, v5
	v_sub_f16_e32 v5, v12, v35
	v_add_f16_e32 v0, v0, v220
	v_add_f16_e32 v7, v7, v35
	v_fmamk_f16 v8, v6, 0x3aee, v1
	v_lshrrev_b32_e32 v9, 16, v36
	v_fmamk_f16 v10, v5, 0xbaee, v201
	v_lshrrev_b32_e32 v11, 16, v110
	v_fmac_f16_e32 v30, 0xbaee, v208
	v_lshlrev_b32_sdwa v166, v3, v15 dst_sel:DWORD dst_unused:UNUSED_PAD src0_sel:DWORD src1_sel:WORD_0
	v_pack_b32_f16 v0, v7, v0
	v_mul_f16_sdwa v7, v9, v54 dst_sel:DWORD dst_unused:UNUSED_PAD src0_sel:DWORD src1_sel:WORD_1
	v_pack_b32_f16 v8, v8, v10
	v_mul_f16_sdwa v10, v11, v53 dst_sel:DWORD dst_unused:UNUSED_PAD src0_sel:DWORD src1_sel:WORD_1
	v_mul_f16_sdwa v13, v36, v54 dst_sel:DWORD dst_unused:UNUSED_PAD src0_sel:DWORD src1_sel:WORD_1
	;; [unrolled: 1-line block ×3, first 2 shown]
	v_pack_b32_f16 v30, v30, v170
	v_add_nc_u32_e32 v12, 0xa00, v166
	v_fma_f16 v7, v36, v54, -v7
	v_fma_f16 v10, v110, v53, -v10
	v_fmac_f16_e32 v13, v9, v54
	v_fmac_f16_e32 v15, v11, v53
	ds_write_b32 v159, v30 offset:648
	ds_write2_b32 v12, v0, v8 offset0:89 offset1:170
	v_fmac_f16_e32 v1, 0xbaee, v6
	v_add_f16_e32 v0, v10, v7
	v_lshrrev_b32_e32 v6, 16, v14
	v_add_f16_e32 v8, v15, v13
	v_fmac_f16_e32 v201, 0x3aee, v5
	v_add_f16_e32 v5, v14, v10
	v_fmac_f16_e32 v14, -0.5, v0
	v_add_f16_e32 v0, v6, v15
	v_sub_f16_e32 v9, v15, v13
	v_fmac_f16_e32 v6, -0.5, v8
	v_sub_f16_e32 v8, v10, v7
	v_add_f16_e32 v5, v5, v7
	v_add_f16_e32 v0, v0, v13
	v_lshrrev_b32_e32 v7, 16, v111
	v_fmamk_f16 v10, v9, 0x3aee, v14
	v_fmamk_f16 v11, v8, 0xbaee, v6
	v_pack_b32_f16 v1, v1, v201
	v_pack_b32_f16 v0, v5, v0
	v_mul_f16_sdwa v12, v7, v55 dst_sel:DWORD dst_unused:UNUSED_PAD src0_sel:DWORD src1_sel:WORD_1
	v_fmac_f16_e32 v14, 0xbaee, v9
	v_pack_b32_f16 v5, v10, v11
	v_lshrrev_b32_e32 v10, 16, v31
	ds_write_b32 v166, v1 offset:3564
	v_mad_u16 v1, 0xf3, v18, v108
	v_fma_f16 v9, v111, v55, -v12
	v_mul_f16_sdwa v11, v111, v55 dst_sel:DWORD dst_unused:UNUSED_PAD src0_sel:DWORD src1_sel:WORD_1
	v_mul_f16_sdwa v12, v31, v56 dst_sel:DWORD dst_unused:UNUSED_PAD src0_sel:DWORD src1_sel:WORD_1
	;; [unrolled: 1-line block ×3, first 2 shown]
	v_lshlrev_b32_sdwa v167, v3, v1 dst_sel:DWORD dst_unused:UNUSED_PAD src0_sel:DWORD src1_sel:WORD_0
	v_fmac_f16_e32 v6, 0x3aee, v8
	v_fmac_f16_e32 v11, v7, v55
	;; [unrolled: 1-line block ×3, first 2 shown]
	v_fma_f16 v1, v31, v56, -v13
	v_lshrrev_b32_e32 v7, 16, v99
	ds_write2_b32 v167, v0, v5 offset1:81
	v_pack_b32_f16 v0, v14, v6
	v_add_f16_e32 v5, v11, v12
	v_add_f16_e32 v6, v9, v1
	;; [unrolled: 1-line block ×3, first 2 shown]
	v_sub_f16_e32 v10, v11, v12
	v_add_f16_e32 v11, v99, v9
	v_fmac_f16_e32 v7, -0.5, v5
	v_fma_f16 v5, -0.5, v6, v99
	v_sub_f16_e32 v6, v9, v1
	v_add_f16_e32 v8, v8, v12
	v_add_f16_e32 v1, v11, v1
	ds_write_b32 v167, v0 offset:648
	v_fmamk_f16 v0, v10, 0x3aee, v5
	v_fmamk_f16 v9, v6, 0xbaee, v7
	v_mad_u16 v11, 0xf3, v114, v115
	v_lshrrev_b32_e32 v12, 16, v32
	v_lshrrev_b32_e32 v13, 16, v112
	v_pack_b32_f16 v1, v1, v8
	v_pack_b32_f16 v0, v0, v9
	v_lshlrev_b32_sdwa v169, v3, v11 dst_sel:DWORD dst_unused:UNUSED_PAD src0_sel:DWORD src1_sel:WORD_0
	v_mul_f16_sdwa v8, v12, v58 dst_sel:DWORD dst_unused:UNUSED_PAD src0_sel:DWORD src1_sel:WORD_1
	v_mul_f16_sdwa v9, v13, v57 dst_sel:DWORD dst_unused:UNUSED_PAD src0_sel:DWORD src1_sel:WORD_1
	;; [unrolled: 1-line block ×4, first 2 shown]
	ds_write2_b32 v169, v1, v0 offset1:81
	v_fma_f16 v0, v32, v58, -v8
	v_fma_f16 v1, v112, v57, -v9
	v_fmac_f16_e32 v11, v12, v58
	v_fmac_f16_e32 v14, v13, v57
	v_lshrrev_b32_e32 v200, 16, v100
	v_fmac_f16_e32 v7, 0x3aee, v6
	v_add_f16_e32 v8, v1, v0
	v_add_f16_e32 v6, v100, v1
	v_fmac_f16_e32 v5, 0xbaee, v10
	v_add_f16_e32 v9, v200, v14
	v_add_f16_e32 v10, v14, v11
	v_fmac_f16_e32 v100, -0.5, v8
	v_mad_u16 v8, 0xf3, v116, v117
	v_sub_f16_e32 v1, v1, v0
	v_add_f16_e32 v98, v6, v0
	v_lshrrev_b32_e32 v0, 16, v113
	v_lshrrev_b32_e32 v6, 16, v2
	v_pack_b32_f16 v5, v5, v7
	v_sub_f16_e32 v7, v14, v11
	v_add_f16_e32 v199, v9, v11
	v_fmac_f16_e32 v200, -0.5, v10
	v_lshlrev_b32_sdwa v170, v3, v8 dst_sel:DWORD dst_unused:UNUSED_PAD src0_sel:DWORD src1_sel:WORD_0
	v_mul_f16_sdwa v8, v0, v59 dst_sel:DWORD dst_unused:UNUSED_PAD src0_sel:DWORD src1_sel:WORD_1
	v_mul_f16_sdwa v9, v113, v59 dst_sel:DWORD dst_unused:UNUSED_PAD src0_sel:DWORD src1_sel:WORD_1
	v_mul_f16_sdwa v10, v6, v60 dst_sel:DWORD dst_unused:UNUSED_PAD src0_sel:DWORD src1_sel:WORD_1
	v_mul_f16_sdwa v11, v2, v60 dst_sel:DWORD dst_unused:UNUSED_PAD src0_sel:DWORD src1_sel:WORD_1
	v_fmamk_f16 v99, v7, 0x3aee, v100
	v_fma_f16 v8, v113, v59, -v8
	v_fmac_f16_e32 v9, v0, v59
	v_fma_f16 v0, v2, v60, -v10
	v_fmac_f16_e32 v11, v6, v60
	v_fmac_f16_e32 v100, 0xbaee, v7
	v_lshrrev_b32_e32 v201, 16, v97
	v_fmamk_f16 v202, v1, 0xbaee, v200
	v_add_f16_e32 v6, v8, v0
	v_add_f16_e32 v7, v9, v11
	v_fmac_f16_e32 v200, 0x3aee, v1
	v_add_f16_e32 v1, v97, v8
	v_add_f16_e32 v10, v201, v9
	v_fmac_f16_e32 v97, -0.5, v6
	v_fmac_f16_e32 v201, -0.5, v7
	v_sub_f16_e32 v6, v8, v0
	v_sub_f16_e32 v7, v9, v11
	v_add_f16_e32 v204, v10, v11
	v_lshlrev_b32_sdwa v171, v3, v118 dst_sel:DWORD dst_unused:UNUSED_PAD src0_sel:DWORD src1_sel:WORD_0
	v_add_f16_e32 v108, v1, v0
	v_fmamk_f16 v203, v6, 0xbaee, v201
	v_fmamk_f16 v105, v7, 0x3aee, v97
	v_fmac_f16_e32 v97, 0xbaee, v7
	v_fmac_f16_e32 v201, 0x3aee, v6
	v_pack_b32_f16 v12, v98, v199
	v_pack_b32_f16 v2, v99, v202
	;; [unrolled: 1-line block ×5, first 2 shown]
	v_add_nc_u32_e32 v6, 0x1600, v171
	v_pack_b32_f16 v7, v97, v201
	ds_write_b32 v169, v5 offset:648
	ds_write2_b32 v170, v12, v2 offset1:81
	ds_write_b32 v170, v0 offset:648
	ds_write2_b32 v6, v1, v3 offset0:50 offset1:131
	ds_write_b32 v171, v7 offset:6480
	s_waitcnt lgkmcnt(0)
	s_barrier
	buffer_gl0_inv
	ds_read2_b32 v[121:122], v109 offset0:102 offset1:165
	ds_read2_b32 v[111:112], v102 offset0:100 offset1:217
	;; [unrolled: 1-line block ×6, first 2 shown]
	ds_read_b32 v207, v125 offset:6336
	ds_read2_b32 v[103:104], v125 offset1:63
	ds_read2_b32 v[101:102], v125 offset0:126 offset1:243
	ds_read2_b32 v[123:124], v198 offset0:50 offset1:113
	;; [unrolled: 1-line block ×3, first 2 shown]
                                        ; implicit-def: $vgpr205
                                        ; implicit-def: $vgpr206
	s_and_saveexec_b32 s0, vcc_lo
	s_cbranch_execz .LBB0_3
; %bb.2:
	v_add_nc_u32_e32 v0, 0x2e0, v125
	v_add_nc_u32_e32 v1, 0xa80, v125
	ds_read2_b32 v[105:106], v106 offset0:9 offset1:252
	ds_read_b32 v205, v125 offset:6588
	ds_read2_b32 v[98:99], v0 offset0:5 offset1:248
	ds_read2_b32 v[107:108], v1 offset0:3 offset1:246
	s_waitcnt lgkmcnt(3)
	v_lshrrev_b32_e32 v203, 16, v105
	v_lshrrev_b32_e32 v201, 16, v106
	s_waitcnt lgkmcnt(2)
	v_lshrrev_b32_e32 v206, 16, v205
	v_mov_b32_e32 v97, v106
	s_waitcnt lgkmcnt(1)
	v_lshrrev_b32_e32 v199, 16, v98
	v_lshrrev_b32_e32 v202, 16, v99
	s_waitcnt lgkmcnt(0)
	v_lshrrev_b32_e32 v200, 16, v107
	v_lshrrev_b32_e32 v204, 16, v108
	v_mov_b32_e32 v100, v107
.LBB0_3:
	s_or_b32 exec_lo, exec_lo, s0
	v_mad_u64_u32 v[0:1], null, v151, 24, s[14:15]
	s_waitcnt lgkmcnt(2)
	v_lshrrev_b32_e32 v106, 16, v102
	v_lshrrev_b32_e32 v107, 16, v121
	;; [unrolled: 1-line block ×6, first 2 shown]
	v_add_co_u32 v2, s0, 0x5e8, v0
	v_add_co_ci_u32_e64 v3, s0, 0, v1, s0
	s_clause 0x1
	global_load_dwordx4 v[8:11], v[0:1], off offset:960
	global_load_dwordx2 v[29:30], v[0:1], off offset:976
	v_add_co_u32 v0, s0, 0xbd0, v0
	v_add_co_ci_u32_e64 v1, s0, 0, v1, s0
	s_clause 0x3
	global_load_dwordx4 v[12:15], v[2:3], off offset:960
	global_load_dwordx2 v[35:36], v[2:3], off offset:976
	global_load_dwordx4 v[4:7], v[0:1], off offset:960
	global_load_dwordx2 v[31:32], v[0:1], off offset:976
	v_subrev_nc_u32_e32 v0, 54, v151
	s_waitcnt lgkmcnt(1)
	v_lshrrev_b32_e32 v212, 16, v123
	v_lshrrev_b32_e32 v213, 16, v122
	;; [unrolled: 1-line block ×4, first 2 shown]
	v_cndmask_b32_e32 v0, v0, v17, vcc_lo
	s_waitcnt lgkmcnt(0)
	v_lshrrev_b32_e32 v216, 16, v119
	v_lshrrev_b32_e32 v217, 16, v116
	;; [unrolled: 1-line block ×4, first 2 shown]
	v_mul_i32_i24_e32 v1, 24, v0
	v_mul_hi_i32_i24_e32 v0, 24, v0
	v_lshrrev_b32_e32 v219, 16, v111
	v_lshrrev_b32_e32 v220, 16, v114
	;; [unrolled: 1-line block ×3, first 2 shown]
	v_add_co_u32 v17, s0, s14, v1
	v_add_co_ci_u32_e64 v18, s0, s15, v0, s0
	s_clause 0x1
	global_load_dwordx4 v[0:3], v[17:18], off offset:960
	global_load_dwordx2 v[17:18], v[17:18], off offset:976
	v_lshrrev_b32_e32 v222, 16, v120
	s_waitcnt vmcnt(7)
	v_mul_f16_sdwa v224, v106, v8 dst_sel:DWORD dst_unused:UNUSED_PAD src0_sel:DWORD src1_sel:WORD_1
	v_mul_f16_sdwa v225, v102, v8 dst_sel:DWORD dst_unused:UNUSED_PAD src0_sel:DWORD src1_sel:WORD_1
	;; [unrolled: 1-line block ×8, first 2 shown]
	s_waitcnt vmcnt(6)
	v_mul_f16_sdwa v232, v210, v29 dst_sel:DWORD dst_unused:UNUSED_PAD src0_sel:DWORD src1_sel:WORD_1
	v_mul_f16_sdwa v233, v110, v29 dst_sel:DWORD dst_unused:UNUSED_PAD src0_sel:DWORD src1_sel:WORD_1
	;; [unrolled: 1-line block ×4, first 2 shown]
	v_fma_f16 v102, v102, v8, -v224
	v_fmac_f16_e32 v225, v106, v8
	v_fma_f16 v106, v121, v9, -v226
	v_fmac_f16_e32 v227, v107, v9
	;; [unrolled: 2-line block ×6, first 2 shown]
	s_waitcnt vmcnt(5)
	v_mul_f16_sdwa v117, v212, v12 dst_sel:DWORD dst_unused:UNUSED_PAD src0_sel:DWORD src1_sel:WORD_1
	v_mul_f16_sdwa v121, v123, v12 dst_sel:DWORD dst_unused:UNUSED_PAD src0_sel:DWORD src1_sel:WORD_1
	;; [unrolled: 1-line block ×8, first 2 shown]
	s_waitcnt vmcnt(4)
	v_mul_f16_sdwa v228, v216, v35 dst_sel:DWORD dst_unused:UNUSED_PAD src0_sel:DWORD src1_sel:WORD_1
	v_mul_f16_sdwa v230, v119, v35 dst_sel:DWORD dst_unused:UNUSED_PAD src0_sel:DWORD src1_sel:WORD_1
	;; [unrolled: 1-line block ×4, first 2 shown]
	s_waitcnt vmcnt(3)
	v_mul_f16_sdwa v236, v218, v4 dst_sel:DWORD dst_unused:UNUSED_PAD src0_sel:DWORD src1_sel:WORD_1
	v_mul_f16_sdwa v237, v124, v4 dst_sel:DWORD dst_unused:UNUSED_PAD src0_sel:DWORD src1_sel:WORD_1
	;; [unrolled: 1-line block ×3, first 2 shown]
	s_waitcnt vmcnt(2)
	v_mul_f16_sdwa v245, v120, v31 dst_sel:DWORD dst_unused:UNUSED_PAD src0_sel:DWORD src1_sel:WORD_1
	v_mul_f16_sdwa v246, v223, v32 dst_sel:DWORD dst_unused:UNUSED_PAD src0_sel:DWORD src1_sel:WORD_1
	;; [unrolled: 1-line block ×9, first 2 shown]
	v_fma_f16 v117, v123, v12, -v117
	v_fmac_f16_e32 v121, v212, v12
	v_fma_f16 v122, v122, v13, -v208
	v_fmac_f16_e32 v209, v213, v13
	;; [unrolled: 2-line block ×7, first 2 shown]
	v_fmac_f16_e32 v239, v219, v5
	v_fmac_f16_e32 v245, v222, v31
	v_fma_f16 v124, v207, v32, -v246
	v_fmac_f16_e32 v247, v223, v32
	v_add_f16_e32 v207, v102, v115
	v_add_f16_e32 v208, v225, v235
	v_sub_f16_e32 v102, v102, v115
	v_sub_f16_e32 v115, v225, v235
	v_add_f16_e32 v210, v106, v110
	v_add_f16_e32 v212, v227, v233
	v_sub_f16_e32 v106, v106, v110
	v_sub_f16_e32 v110, v227, v233
	;; [unrolled: 4-line block ×3, first 2 shown]
	v_fma_f16 v111, v111, v5, -v238
	v_fma_f16 v114, v114, v6, -v240
	v_fmac_f16_e32 v241, v220, v6
	v_fma_f16 v109, v109, v7, -v242
	v_fmac_f16_e32 v243, v221, v7
	v_fma_f16 v120, v120, v31, -v244
	s_waitcnt vmcnt(1)
	v_mul_f16_sdwa v215, v202, v0 dst_sel:DWORD dst_unused:UNUSED_PAD src0_sel:DWORD src1_sel:WORD_1
	v_mul_f16_sdwa v216, v99, v0 dst_sel:DWORD dst_unused:UNUSED_PAD src0_sel:DWORD src1_sel:WORD_1
	v_mul_f16_sdwa v217, v200, v1 dst_sel:DWORD dst_unused:UNUSED_PAD src0_sel:DWORD src1_sel:WORD_1
	v_mul_f16_sdwa v218, v100, v1 dst_sel:DWORD dst_unused:UNUSED_PAD src0_sel:DWORD src1_sel:WORD_1
	v_mul_f16_sdwa v219, v204, v2 dst_sel:DWORD dst_unused:UNUSED_PAD src0_sel:DWORD src1_sel:WORD_1
	v_mul_f16_sdwa v220, v108, v2 dst_sel:DWORD dst_unused:UNUSED_PAD src0_sel:DWORD src1_sel:WORD_1
	v_mul_f16_sdwa v221, v203, v3 dst_sel:DWORD dst_unused:UNUSED_PAD src0_sel:DWORD src1_sel:WORD_1
	v_mul_f16_sdwa v222, v105, v3 dst_sel:DWORD dst_unused:UNUSED_PAD src0_sel:DWORD src1_sel:WORD_1
	s_waitcnt vmcnt(0)
	v_mul_f16_sdwa v223, v201, v17 dst_sel:DWORD dst_unused:UNUSED_PAD src0_sel:DWORD src1_sel:WORD_1
	v_mul_f16_sdwa v224, v97, v17 dst_sel:DWORD dst_unused:UNUSED_PAD src0_sel:DWORD src1_sel:WORD_1
	;; [unrolled: 1-line block ×4, first 2 shown]
	v_add_f16_e32 v228, v210, v207
	v_add_f16_e32 v229, v212, v208
	v_sub_f16_e32 v231, v210, v207
	v_sub_f16_e32 v232, v212, v208
	;; [unrolled: 1-line block ×6, first 2 shown]
	v_add_f16_e32 v233, v107, v106
	v_add_f16_e32 v235, v112, v110
	v_sub_f16_e32 v236, v107, v106
	v_sub_f16_e32 v238, v112, v110
	;; [unrolled: 1-line block ×4, first 2 shown]
	v_add_f16_e32 v240, v117, v116
	v_add_f16_e32 v242, v121, v234
	v_sub_f16_e32 v116, v117, v116
	v_sub_f16_e32 v117, v121, v234
	v_add_f16_e32 v121, v122, v119
	v_add_f16_e32 v234, v209, v230
	v_sub_f16_e32 v119, v122, v119
	v_sub_f16_e32 v122, v209, v230
	;; [unrolled: 4-line block ×4, first 2 shown]
	v_add_f16_e32 v211, v123, v124
	v_sub_f16_e32 v123, v123, v124
	v_sub_f16_e32 v124, v237, v247
	v_add_f16_e32 v237, v111, v120
	v_sub_f16_e32 v111, v111, v120
	v_sub_f16_e32 v120, v239, v245
	v_add_f16_e32 v239, v114, v109
	v_add_f16_e32 v245, v241, v243
	v_sub_f16_e32 v109, v109, v114
	v_sub_f16_e32 v114, v243, v241
	v_fma_f16 v99, v99, v0, -v215
	v_fmac_f16_e32 v216, v202, v0
	v_fma_f16 v100, v100, v1, -v217
	v_fmac_f16_e32 v218, v200, v1
	;; [unrolled: 2-line block ×6, first 2 shown]
	v_add_f16_e32 v201, v213, v228
	v_add_f16_e32 v202, v214, v229
	;; [unrolled: 1-line block ×4, first 2 shown]
	v_mul_f16_e32 v203, 0x3a52, v207
	v_mul_f16_e32 v204, 0x3a52, v208
	;; [unrolled: 1-line block ×8, first 2 shown]
	v_add_f16_e32 v215, v121, v240
	v_add_f16_e32 v217, v234, v242
	v_sub_f16_e32 v219, v121, v240
	v_sub_f16_e32 v223, v240, v209
	;; [unrolled: 1-line block ×4, first 2 shown]
	v_add_f16_e32 v229, v113, v119
	v_add_f16_e32 v233, v118, v122
	v_sub_f16_e32 v235, v118, v122
	v_sub_f16_e32 v122, v122, v117
	v_add_f16_e32 v238, v244, v226
	v_sub_f16_e32 v221, v234, v242
	v_sub_f16_e32 v225, v242, v230
	;; [unrolled: 1-line block ×6, first 2 shown]
	v_add_f16_e32 v236, v237, v211
	v_sub_f16_e32 v240, v237, v211
	v_sub_f16_e32 v241, v244, v226
	;; [unrolled: 1-line block ×4, first 2 shown]
	v_add_f16_e32 v243, v109, v111
	v_add_f16_e32 v244, v114, v120
	v_sub_f16_e32 v246, v109, v111
	v_sub_f16_e32 v247, v114, v120
	;; [unrolled: 1-line block ×4, first 2 shown]
	v_add_f16_e32 v248, v103, v201
	v_add_f16_sdwa v249, v103, v202 dst_sel:DWORD dst_unused:UNUSED_PAD src0_sel:WORD_1 src1_sel:DWORD
	v_fmamk_f16 v103, v210, 0x2b26, v203
	v_fmamk_f16 v210, v212, 0x2b26, v204
	v_fma_f16 v205, v231, 0x39e0, -v205
	v_fma_f16 v206, v232, 0x39e0, -v206
	;; [unrolled: 1-line block ×4, first 2 shown]
	v_fmamk_f16 v212, v107, 0x3574, v207
	v_fmamk_f16 v231, v112, 0x3574, v208
	v_fma_f16 v106, v106, 0x3b00, -v207
	v_fma_f16 v110, v110, 0x3b00, -v208
	;; [unrolled: 1-line block ×4, first 2 shown]
	v_add_f16_e32 v207, v209, v215
	v_add_f16_e32 v208, v230, v217
	;; [unrolled: 1-line block ×3, first 2 shown]
	v_mul_f16_e32 v209, 0x3a52, v223
	v_mul_f16_e32 v214, 0x2b26, v121
	;; [unrolled: 1-line block ×5, first 2 shown]
	v_add_f16_e32 v232, v245, v238
	v_sub_f16_e32 v211, v211, v239
	v_sub_f16_e32 v109, v123, v109
	;; [unrolled: 1-line block ×3, first 2 shown]
	v_add_f16_e32 v117, v233, v117
	v_mul_f16_e32 v213, 0x3a52, v225
	v_mul_f16_e32 v217, 0xb846, v234
	;; [unrolled: 1-line block ×3, first 2 shown]
	v_add_f16_e32 v230, v239, v236
	v_add_f16_e32 v123, v243, v123
	;; [unrolled: 1-line block ×3, first 2 shown]
	v_mul_f16_e32 v233, 0x2b26, v237
	v_mul_f16_e32 v234, 0x2b26, v242
	;; [unrolled: 1-line block ×6, first 2 shown]
	v_fmamk_f16 v201, v201, 0xbcab, v248
	v_fmamk_f16 v202, v202, 0xbcab, v249
	v_fmac_f16_e32 v212, 0x370e, v102
	v_fmac_f16_e32 v231, 0x370e, v115
	;; [unrolled: 1-line block ×6, first 2 shown]
	v_add_f16_e32 v243, v104, v207
	v_add_f16_sdwa v244, v104, v208 dst_sel:DWORD dst_unused:UNUSED_PAD src0_sel:WORD_1 src1_sel:DWORD
	v_fmamk_f16 v102, v121, 0x2b26, v209
	v_fma_f16 v115, v219, 0x39e0, -v214
	v_fma_f16 v121, v221, 0x39e0, -v215
	;; [unrolled: 1-line block ×3, first 2 shown]
	v_fmamk_f16 v215, v118, 0x3574, v223
	v_fma_f16 v122, v122, 0x3b00, -v223
	v_fma_f16 v118, v118, 0xb574, -v229
	v_add_f16_sdwa v219, v101, v232 dst_sel:DWORD dst_unused:UNUSED_PAD src0_sel:WORD_1 src1_sel:DWORD
	v_sub_f16_e32 v226, v226, v245
	v_mul_f16_e32 v211, 0x3a52, v211
	v_fmamk_f16 v104, v228, 0x2b26, v213
	v_fmamk_f16 v214, v113, 0x3574, v217
	v_fma_f16 v119, v119, 0x3b00, -v217
	v_fma_f16 v113, v113, 0xb574, -v225
	v_add_f16_e32 v217, v101, v230
	v_fma_f16 v223, v240, 0x39e0, -v233
	v_fma_f16 v225, v241, 0x39e0, -v234
	v_fmamk_f16 v228, v109, 0x3574, v235
	v_fmamk_f16 v229, v114, 0x3574, v236
	v_fma_f16 v111, v111, 0x3b00, -v235
	v_fma_f16 v233, v109, 0xb574, -v238
	;; [unrolled: 1-line block ×3, first 2 shown]
	v_add_f16_e32 v103, v103, v201
	v_add_f16_e32 v109, v210, v202
	;; [unrolled: 1-line block ×6, first 2 shown]
	v_fmamk_f16 v203, v207, 0xbcab, v243
	v_fmamk_f16 v204, v208, 0xbcab, v244
	v_fmac_f16_e32 v215, 0x370e, v117
	v_fmac_f16_e32 v122, 0x370e, v117
	;; [unrolled: 1-line block ×3, first 2 shown]
	v_fmamk_f16 v117, v232, 0xbcab, v219
	v_mul_f16_e32 v226, 0x3a52, v226
	v_fma_f16 v213, v221, 0xb9e0, -v213
	v_fmamk_f16 v101, v237, 0x2b26, v211
	v_fma_f16 v120, v120, 0x3b00, -v236
	v_fmac_f16_e32 v214, 0x370e, v116
	v_fmac_f16_e32 v119, 0x370e, v116
	;; [unrolled: 1-line block ×3, first 2 shown]
	v_fmamk_f16 v116, v230, 0xbcab, v217
	v_fmac_f16_e32 v111, 0x370e, v123
	v_sub_f16_e32 v230, v114, v110
	v_add_f16_e32 v232, v106, v205
	v_add_f16_e32 v235, v110, v114
	v_sub_f16_e32 v205, v205, v106
	v_add_f16_e32 v102, v102, v203
	v_add_f16_e32 v106, v121, v204
	;; [unrolled: 1-line block ×3, first 2 shown]
	v_fmamk_f16 v221, v242, 0x2b26, v226
	v_fma_f16 v211, v240, 0xb9e0, -v211
	v_fma_f16 v226, v241, 0xb9e0, -v226
	v_fmac_f16_e32 v120, 0x370e, v124
	v_add_f16_e32 v206, v231, v103
	v_sub_f16_e32 v207, v109, v212
	v_add_f16_e32 v208, v112, v201
	v_sub_f16_e32 v210, v202, v107
	v_sub_f16_e32 v201, v201, v112
	v_add_f16_e32 v202, v107, v202
	v_sub_f16_e32 v231, v103, v231
	v_add_f16_e32 v212, v212, v109
	v_add_f16_e32 v103, v104, v204
	;; [unrolled: 1-line block ×9, first 2 shown]
	v_sub_f16_e32 v238, v106, v119
	v_sub_f16_e32 v215, v102, v215
	v_add_f16_e32 v250, v111, v110
	v_sub_f16_e32 v252, v110, v111
	v_add_f16_e32 v102, v99, v105
	v_add_f16_e32 v106, v216, v227
	v_sub_f16_e32 v111, v99, v105
	v_add_f16_e32 v105, v100, v97
	v_add_f16_e32 v112, v218, v224
	;; [unrolled: 1-line block ×5, first 2 shown]
	v_sub_f16_e32 v221, v103, v214
	v_add_f16_e32 v223, v118, v107
	v_sub_f16_e32 v226, v104, v122
	v_add_f16_e32 v237, v122, v104
	v_sub_f16_e32 v239, v107, v118
	v_add_f16_e32 v214, v214, v103
	v_sub_f16_e32 v247, v101, v120
	v_add_f16_e32 v251, v120, v101
	v_sub_f16_e32 v101, v216, v227
	v_sub_f16_e32 v114, v100, v97
	;; [unrolled: 1-line block ×3, first 2 shown]
	v_add_f16_e32 v97, v108, v200
	v_add_f16_e32 v99, v220, v222
	v_sub_f16_e32 v100, v200, v108
	v_sub_f16_e32 v104, v222, v220
	v_add_f16_e32 v107, v105, v102
	v_add_f16_e32 v108, v112, v106
	v_fmac_f16_e32 v234, 0x370e, v124
	v_sub_f16_e32 v225, v109, v113
	v_add_f16_e32 v240, v113, v109
	v_sub_f16_e32 v109, v102, v97
	v_sub_f16_e32 v110, v106, v99
	;; [unrolled: 1-line block ×3, first 2 shown]
	v_add_f16_e32 v113, v100, v114
	v_add_f16_e32 v117, v104, v103
	v_sub_f16_e32 v116, v100, v114
	v_sub_f16_e32 v115, v104, v103
	;; [unrolled: 1-line block ×3, first 2 shown]
	v_add_f16_e32 v107, v97, v107
	v_add_f16_e32 v99, v99, v108
	v_sub_f16_e32 v104, v101, v104
	v_fmac_f16_e32 v228, 0x370e, v123
	v_fmac_f16_e32 v233, 0x370e, v123
	v_add_f16_e32 v245, v234, v209
	v_sub_f16_e32 v121, v97, v105
	v_add_f16_e32 v119, v117, v101
	v_add_f16_e32 v97, v98, v107
	;; [unrolled: 1-line block ×3, first 2 shown]
	v_mul_f16_e32 v118, 0x3a52, v109
	v_mul_f16_e32 v120, 0x3a52, v110
	;; [unrolled: 1-line block ×4, first 2 shown]
	v_sub_f16_e32 v199, v209, v234
	v_pack_b32_f16 v206, v206, v207
	v_pack_b32_f16 v209, v230, v232
	;; [unrolled: 1-line block ×5, first 2 shown]
	v_fmac_f16_e32 v229, 0x370e, v124
	v_add_f16_e32 v124, v113, v111
	v_fmamk_f16 v109, v107, 0xbcab, v97
	v_fmamk_f16 v113, v99, 0xbcab, v98
	;; [unrolled: 1-line block ×6, first 2 shown]
	ds_write_b32 v125, v206 offset:972
	ds_write_b32 v125, v207 offset:1944
	;; [unrolled: 1-line block ×4, first 2 shown]
	v_pack_b32_f16 v202, v231, v212
	ds_write_b32 v125, v201 offset:4860
	v_pack_b32_f16 v201, v223, v225
	v_pack_b32_f16 v208, v248, v249
	v_pack_b32_f16 v205, v243, v244
	v_pack_b32_f16 v206, v226, v236
	v_add_f16_e32 v241, v229, v203
	v_sub_f16_e32 v242, v204, v228
	v_sub_f16_e32 v246, v211, v233
	v_add_f16_e32 v108, v99, v109
	v_add_f16_e32 v110, v100, v113
	v_fmac_f16_e32 v104, 0x370e, v119
	v_fmac_f16_e32 v107, 0x370e, v124
	ds_write_b32 v125, v202 offset:5832
	ds_write2_b32 v125, v208, v205 offset1:63
	ds_write_b32 v125, v201 offset:2196
	ds_write_b32 v125, v206 offset:3168
	v_pack_b32_f16 v201, v237, v238
	v_pack_b32_f16 v205, v239, v240
	v_pack_b32_f16 v206, v215, v214
	v_add_f16_e32 v200, v233, v211
	v_pack_b32_f16 v207, v217, v219
	v_sub_f16_e32 v203, v203, v229
	v_add_f16_e32 v204, v228, v204
	v_pack_b32_f16 v202, v213, v221
	v_pack_b32_f16 v208, v241, v242
	v_sub_f16_e32 v99, v108, v104
	v_add_f16_e32 v100, v107, v110
	ds_write_b32 v125, v201 offset:4140
	ds_write_b32 v125, v205 offset:5112
	;; [unrolled: 1-line block ×4, first 2 shown]
	ds_write2_b32 v198, v202, v208 offset0:50 offset1:113
	v_pack_b32_f16 v198, v245, v246
	v_pack_b32_f16 v201, v247, v250
	;; [unrolled: 1-line block ×5, first 2 shown]
	ds_write_b32 v125, v198 offset:2448
	ds_write_b32 v125, v201 offset:3420
	;; [unrolled: 1-line block ×5, first 2 shown]
	s_and_saveexec_b32 s0, vcc_lo
	s_cbranch_execz .LBB0_5
; %bb.4:
	v_mul_f16_e32 v121, 0x2b26, v121
	v_mul_f16_e32 v122, 0x2b26, v122
	v_sub_f16_e32 v111, v114, v111
	v_sub_f16_e32 v106, v112, v106
	;; [unrolled: 1-line block ×3, first 2 shown]
	v_mul_f16_e32 v112, 0xb846, v116
	v_sub_f16_e32 v101, v103, v101
	v_mul_f16_e32 v103, 0xb846, v115
	v_mul_f16_e32 v124, 0x370e, v124
	;; [unrolled: 1-line block ×3, first 2 shown]
	v_fma_f16 v114, v111, 0xbb00, -v123
	v_fma_f16 v116, v106, 0xb9e0, -v120
	v_fma_f16 v118, v102, 0xb9e0, -v118
	v_fma_f16 v117, v101, 0xbb00, -v117
	v_fma_f16 v106, v106, 0x39e0, -v122
	v_fma_f16 v111, v111, 0x3b00, -v112
	v_fma_f16 v101, v101, 0x3b00, -v103
	v_fma_f16 v102, v102, 0x39e0, -v121
	v_add_f16_e32 v114, v124, v114
	v_add_f16_e32 v115, v116, v113
	;; [unrolled: 1-line block ×8, first 2 shown]
	v_sub_f16_e32 v107, v110, v107
	v_add_f16_e32 v104, v104, v108
	v_sub_f16_e32 v109, v116, v103
	v_sub_f16_e32 v112, v106, v111
	v_add_f16_e32 v113, v101, v102
	v_add_f16_e32 v106, v111, v106
	v_sub_f16_e32 v108, v115, v114
	v_add_f16_e32 v103, v103, v116
	v_sub_f16_e32 v101, v102, v101
	v_add_f16_e32 v105, v114, v115
	v_perm_b32 v97, v98, v97, 0x5040100
	v_pack_b32_f16 v98, v104, v107
	v_add_nc_u32_e32 v102, 0x2e0, v125
	v_pack_b32_f16 v103, v103, v108
	v_pack_b32_f16 v101, v101, v106
	v_add_nc_u32_e32 v104, 0xa80, v125
	v_pack_b32_f16 v106, v113, v112
	v_pack_b32_f16 v105, v109, v105
	v_add_nc_u32_e32 v107, 0x1200, v125
	v_perm_b32 v108, v100, v99, 0x5040100
	ds_write2_b32 v102, v97, v98 offset0:5 offset1:248
	ds_write2_b32 v104, v103, v101 offset0:3 offset1:246
	;; [unrolled: 1-line block ×3, first 2 shown]
	ds_write_b32 v125, v108 offset:6588
.LBB0_5:
	s_or_b32 exec_lo, exec_lo, s0
	v_lshlrev_b32_e32 v97, 2, v151
	s_waitcnt lgkmcnt(0)
	s_barrier
	buffer_gl0_inv
	ds_read_b32 v104, v125 offset:6552
	v_add_co_u32 v101, s0, s12, v97
	v_add_co_ci_u32_e64 v102, null, s13, 0, s0
	v_add_co_u32 v97, s0, 0x3000, v101
	v_add_co_ci_u32_e64 v98, s0, 0, v102, s0
	s_clause 0x1
	global_load_dword v103, v[97:98], off offset:1068
	global_load_dword v107, v[97:98], off offset:816
	s_waitcnt lgkmcnt(0)
	v_lshrrev_b32_e32 v105, 16, v104
	s_waitcnt vmcnt(1)
	v_mul_f16_sdwa v106, v105, v103 dst_sel:DWORD dst_unused:UNUSED_PAD src0_sel:DWORD src1_sel:WORD_1
	v_mul_f16_sdwa v114, v104, v103 dst_sel:DWORD dst_unused:UNUSED_PAD src0_sel:DWORD src1_sel:WORD_1
	v_fma_f16 v108, v104, v103, -v106
	v_fmac_f16_e32 v114, v105, v103
	v_add_co_u32 v103, s0, 0x1800, v101
	v_add_co_ci_u32_e64 v104, s0, 0, v102, s0
	global_load_dword v109, v[103:104], off offset:660
	v_add_co_u32 v103, s0, 0x2000, v101
	v_add_co_ci_u32_e64 v104, s0, 0, v102, s0
	v_add_co_u32 v110, s0, 0x2800, v101
	v_add_co_ci_u32_e64 v111, s0, 0, v102, s0
	s_clause 0x5
	global_load_dword v115, v[103:104], off offset:1384
	global_load_dword v116, v[103:104], off offset:1636
	;; [unrolled: 1-line block ×6, first 2 shown]
	ds_read2_b32 v[105:106], v125 offset1:63
	v_add_co_u32 v101, s0, 0x1a94, v101
	v_add_co_ci_u32_e64 v102, s0, 0, v102, s0
	global_load_dword v121, v[97:98], off offset:564
	s_waitcnt lgkmcnt(0)
	v_lshrrev_b32_e32 v112, 16, v105
	s_waitcnt vmcnt(7)
	v_mul_f16_sdwa v113, v105, v109 dst_sel:DWORD dst_unused:UNUSED_PAD src0_sel:DWORD src1_sel:WORD_1
	v_fmac_f16_e32 v113, v112, v109
	v_mul_f16_sdwa v112, v112, v109 dst_sel:DWORD dst_unused:UNUSED_PAD src0_sel:DWORD src1_sel:WORD_1
	v_fma_f16 v105, v105, v109, -v112
	v_add_nc_u32_e32 v109, 0x1600, v125
	v_pack_b32_f16 v105, v105, v113
	ds_write_b32 v125, v105
	ds_read2_b32 v[112:113], v109 offset0:104 offset1:167
	s_waitcnt lgkmcnt(0)
	v_lshrrev_b32_e32 v105, 16, v113
	v_mul_f16_sdwa v122, v113, v107 dst_sel:DWORD dst_unused:UNUSED_PAD src0_sel:DWORD src1_sel:WORD_1
	s_waitcnt vmcnt(0)
	v_mul_f16_sdwa v228, v112, v121 dst_sel:DWORD dst_unused:UNUSED_PAD src0_sel:DWORD src1_sel:WORD_1
	v_fmac_f16_e32 v122, v105, v107
	v_mul_f16_sdwa v105, v105, v107 dst_sel:DWORD dst_unused:UNUSED_PAD src0_sel:DWORD src1_sel:WORD_1
	v_fma_f16 v105, v113, v107, -v105
	v_pack_b32_f16 v107, v108, v114
	v_add_nc_u32_e32 v108, 0x1800, v125
	v_pack_b32_f16 v105, v105, v122
	ds_write2_b32 v108, v105, v107 offset0:39 offset1:102
	s_clause 0x7
	global_load_dword v105, v[101:102], off offset:252
	global_load_dword v107, v[101:102], off offset:504
	;; [unrolled: 1-line block ×8, first 2 shown]
	v_lshrrev_b32_e32 v101, 16, v106
	s_waitcnt vmcnt(7)
	v_mul_f16_sdwa v102, v101, v105 dst_sel:DWORD dst_unused:UNUSED_PAD src0_sel:DWORD src1_sel:WORD_1
	v_mul_f16_sdwa v199, v106, v105 dst_sel:DWORD dst_unused:UNUSED_PAD src0_sel:DWORD src1_sel:WORD_1
	v_fma_f16 v198, v106, v105, -v102
	v_fmac_f16_e32 v199, v101, v105
	s_clause 0x3
	global_load_dword v106, v[97:98], off offset:60
	global_load_dword v97, v[97:98], off offset:312
	;; [unrolled: 1-line block ×4, first 2 shown]
	v_add_nc_u32_e32 v98, 0x1000, v125
	s_clause 0x2
	global_load_dword v201, v[110:111], off offset:1604
	global_load_dword v202, v[110:111], off offset:1856
	;; [unrolled: 1-line block ×3, first 2 shown]
	ds_read2_b32 v[101:102], v98 offset0:110 offset1:173
	s_waitcnt lgkmcnt(0)
	v_lshrrev_b32_e32 v204, 16, v101
	s_waitcnt vmcnt(4)
	v_mul_f16_sdwa v205, v101, v105 dst_sel:DWORD dst_unused:UNUSED_PAD src0_sel:DWORD src1_sel:WORD_1
	s_waitcnt vmcnt(3)
	v_mul_f16_sdwa v207, v102, v200 dst_sel:DWORD dst_unused:UNUSED_PAD src0_sel:DWORD src1_sel:WORD_1
	v_fmac_f16_e32 v205, v204, v105
	v_mul_f16_sdwa v204, v204, v105 dst_sel:DWORD dst_unused:UNUSED_PAD src0_sel:DWORD src1_sel:WORD_1
	v_fma_f16 v204, v101, v105, -v204
	v_lshrrev_b32_e32 v101, 16, v102
	v_mul_f16_sdwa v105, v101, v200 dst_sel:DWORD dst_unused:UNUSED_PAD src0_sel:DWORD src1_sel:WORD_1
	v_fmac_f16_e32 v207, v101, v200
	global_load_dword v101, v[103:104], off offset:1132
	v_fma_f16 v206, v102, v200, -v105
	v_add_nc_u32_e32 v102, 0x800, v125
	ds_read2_b32 v[103:104], v102 offset0:118 offset1:181
	s_waitcnt lgkmcnt(0)
	v_lshrrev_b32_e32 v105, 16, v103
	v_mul_f16_sdwa v210, v104, v115 dst_sel:DWORD dst_unused:UNUSED_PAD src0_sel:DWORD src1_sel:WORD_1
	s_waitcnt vmcnt(0)
	v_mul_f16_sdwa v200, v103, v101 dst_sel:DWORD dst_unused:UNUSED_PAD src0_sel:DWORD src1_sel:WORD_1
	v_fmac_f16_e32 v200, v105, v101
	v_mul_f16_sdwa v105, v105, v101 dst_sel:DWORD dst_unused:UNUSED_PAD src0_sel:DWORD src1_sel:WORD_1
	v_fma_f16 v208, v103, v101, -v105
	v_lshrrev_b32_e32 v101, 16, v104
	v_mul_f16_sdwa v103, v101, v115 dst_sel:DWORD dst_unused:UNUSED_PAD src0_sel:DWORD src1_sel:WORD_1
	v_fmac_f16_e32 v210, v101, v115
	v_fma_f16 v209, v104, v115, -v103
	ds_read2_b32 v[103:104], v125 offset0:126 offset1:189
	s_waitcnt lgkmcnt(0)
	v_lshrrev_b32_e32 v101, 16, v103
	v_mul_f16_sdwa v115, v103, v107 dst_sel:DWORD dst_unused:UNUSED_PAD src0_sel:DWORD src1_sel:WORD_1
	v_mul_f16_sdwa v213, v104, v108 dst_sel:DWORD dst_unused:UNUSED_PAD src0_sel:DWORD src1_sel:WORD_1
	v_fmac_f16_e32 v115, v101, v107
	v_mul_f16_sdwa v101, v101, v107 dst_sel:DWORD dst_unused:UNUSED_PAD src0_sel:DWORD src1_sel:WORD_1
	v_fma_f16 v211, v103, v107, -v101
	v_lshrrev_b32_e32 v101, 16, v104
	v_add_nc_u32_e32 v107, 0x200, v125
	v_pack_b32_f16 v115, v211, v115
	v_mul_f16_sdwa v103, v101, v108 dst_sel:DWORD dst_unused:UNUSED_PAD src0_sel:DWORD src1_sel:WORD_1
	v_fmac_f16_e32 v213, v101, v108
	v_add_nc_u32_e32 v101, 0x1200, v125
	v_fma_f16 v212, v104, v108, -v103
	v_add_nc_u32_e32 v108, 0xa00, v125
	ds_read2_b32 v[103:104], v101 offset0:108 offset1:171
	s_waitcnt lgkmcnt(0)
	v_lshrrev_b32_e32 v105, 16, v103
	v_mul_f16_sdwa v214, v103, v201 dst_sel:DWORD dst_unused:UNUSED_PAD src0_sel:DWORD src1_sel:WORD_1
	v_mul_f16_sdwa v216, v104, v202 dst_sel:DWORD dst_unused:UNUSED_PAD src0_sel:DWORD src1_sel:WORD_1
	v_fmac_f16_e32 v214, v105, v201
	v_mul_f16_sdwa v105, v105, v201 dst_sel:DWORD dst_unused:UNUSED_PAD src0_sel:DWORD src1_sel:WORD_1
	v_fma_f16 v201, v103, v201, -v105
	v_lshrrev_b32_e32 v103, 16, v104
	v_mul_f16_sdwa v105, v103, v202 dst_sel:DWORD dst_unused:UNUSED_PAD src0_sel:DWORD src1_sel:WORD_1
	v_fmac_f16_e32 v216, v103, v202
	v_fma_f16 v215, v104, v202, -v105
	ds_read2_b32 v[103:104], v108 offset0:116 offset1:179
	s_waitcnt lgkmcnt(0)
	v_lshrrev_b32_e32 v105, 16, v103
	v_mul_f16_sdwa v202, v103, v116 dst_sel:DWORD dst_unused:UNUSED_PAD src0_sel:DWORD src1_sel:WORD_1
	v_mul_f16_sdwa v218, v104, v117 dst_sel:DWORD dst_unused:UNUSED_PAD src0_sel:DWORD src1_sel:WORD_1
	v_fmac_f16_e32 v202, v105, v116
	v_mul_f16_sdwa v105, v105, v116 dst_sel:DWORD dst_unused:UNUSED_PAD src0_sel:DWORD src1_sel:WORD_1
	v_fma_f16 v116, v103, v116, -v105
	v_lshrrev_b32_e32 v103, 16, v104
	v_mul_f16_sdwa v105, v103, v117 dst_sel:DWORD dst_unused:UNUSED_PAD src0_sel:DWORD src1_sel:WORD_1
	v_fmac_f16_e32 v218, v103, v117
	v_fma_f16 v217, v104, v117, -v105
	ds_read2_b32 v[103:104], v107 offset0:124 offset1:187
	s_waitcnt lgkmcnt(0)
	v_lshrrev_b32_e32 v105, 16, v103
	v_mul_f16_sdwa v117, v103, v113 dst_sel:DWORD dst_unused:UNUSED_PAD src0_sel:DWORD src1_sel:WORD_1
	v_mul_f16_sdwa v221, v104, v114 dst_sel:DWORD dst_unused:UNUSED_PAD src0_sel:DWORD src1_sel:WORD_1
	v_fmac_f16_e32 v117, v105, v113
	v_mul_f16_sdwa v105, v105, v113 dst_sel:DWORD dst_unused:UNUSED_PAD src0_sel:DWORD src1_sel:WORD_1
	v_fma_f16 v219, v103, v113, -v105
	v_lshrrev_b32_e32 v103, 16, v104
	v_mul_f16_sdwa v105, v103, v114 dst_sel:DWORD dst_unused:UNUSED_PAD src0_sel:DWORD src1_sel:WORD_1
	v_fmac_f16_e32 v221, v103, v114
	v_add_nc_u32_e32 v103, 0x1400, v125
	v_fma_f16 v220, v104, v114, -v105
	ds_read2_b32 v[104:105], v103 offset0:106 offset1:169
	s_waitcnt lgkmcnt(0)
	v_lshrrev_b32_e32 v113, 16, v104
	v_mul_f16_sdwa v114, v104, v106 dst_sel:DWORD dst_unused:UNUSED_PAD src0_sel:DWORD src1_sel:WORD_1
	v_mul_f16_sdwa v224, v105, v97 dst_sel:DWORD dst_unused:UNUSED_PAD src0_sel:DWORD src1_sel:WORD_1
	v_fmac_f16_e32 v114, v113, v106
	v_mul_f16_sdwa v113, v113, v106 dst_sel:DWORD dst_unused:UNUSED_PAD src0_sel:DWORD src1_sel:WORD_1
	v_fma_f16 v222, v104, v106, -v113
	v_lshrrev_b32_e32 v104, 16, v105
	v_pack_b32_f16 v114, v222, v114
	v_mul_f16_sdwa v106, v104, v97 dst_sel:DWORD dst_unused:UNUSED_PAD src0_sel:DWORD src1_sel:WORD_1
	v_fmac_f16_e32 v224, v104, v97
	v_add_nc_u32_e32 v104, 0xc00, v125
	v_fma_f16 v223, v105, v97, -v106
	ds_read2_b32 v[105:106], v104 offset0:114 offset1:177
	s_waitcnt lgkmcnt(0)
	v_lshrrev_b32_e32 v97, 16, v105
	v_mul_f16_sdwa v225, v105, v118 dst_sel:DWORD dst_unused:UNUSED_PAD src0_sel:DWORD src1_sel:WORD_1
	v_mul_f16_sdwa v227, v106, v119 dst_sel:DWORD dst_unused:UNUSED_PAD src0_sel:DWORD src1_sel:WORD_1
	v_fmac_f16_e32 v225, v97, v118
	v_mul_f16_sdwa v97, v97, v118 dst_sel:DWORD dst_unused:UNUSED_PAD src0_sel:DWORD src1_sel:WORD_1
	v_fma_f16 v118, v105, v118, -v97
	v_lshrrev_b32_e32 v97, 16, v106
	v_mul_f16_sdwa v105, v97, v119 dst_sel:DWORD dst_unused:UNUSED_PAD src0_sel:DWORD src1_sel:WORD_1
	v_fmac_f16_e32 v227, v97, v119
	v_lshrrev_b32_e32 v97, 16, v112
	v_fma_f16 v226, v106, v119, -v105
	v_mul_f16_sdwa v105, v97, v121 dst_sel:DWORD dst_unused:UNUSED_PAD src0_sel:DWORD src1_sel:WORD_1
	v_fmac_f16_e32 v228, v97, v121
	v_add_nc_u32_e32 v97, 0x400, v125
	v_fma_f16 v119, v112, v121, -v105
	ds_read2_b32 v[105:106], v97 offset0:122 offset1:185
	s_waitcnt lgkmcnt(0)
	v_lshrrev_b32_e32 v112, 16, v105
	v_mul_f16_sdwa v121, v105, v122 dst_sel:DWORD dst_unused:UNUSED_PAD src0_sel:DWORD src1_sel:WORD_1
	v_mul_f16_sdwa v230, v106, v123 dst_sel:DWORD dst_unused:UNUSED_PAD src0_sel:DWORD src1_sel:WORD_1
	v_fmac_f16_e32 v121, v112, v122
	v_mul_f16_sdwa v112, v112, v122 dst_sel:DWORD dst_unused:UNUSED_PAD src0_sel:DWORD src1_sel:WORD_1
	v_fma_f16 v122, v105, v122, -v112
	v_lshrrev_b32_e32 v105, 16, v106
	v_mul_f16_sdwa v112, v105, v123 dst_sel:DWORD dst_unused:UNUSED_PAD src0_sel:DWORD src1_sel:WORD_1
	v_fmac_f16_e32 v230, v105, v123
	v_add_nc_u32_e32 v105, 0x600, v125
	v_fma_f16 v229, v106, v123, -v112
	ds_read2_b32 v[112:113], v105 offset0:120 offset1:183
	s_waitcnt lgkmcnt(0)
	v_lshrrev_b32_e32 v106, 16, v113
	v_mul_f16_sdwa v123, v113, v120 dst_sel:DWORD dst_unused:UNUSED_PAD src0_sel:DWORD src1_sel:WORD_1
	v_fmac_f16_e32 v123, v106, v120
	v_mul_f16_sdwa v106, v106, v120 dst_sel:DWORD dst_unused:UNUSED_PAD src0_sel:DWORD src1_sel:WORD_1
	v_fma_f16 v113, v113, v120, -v106
	v_lshrrev_b32_e32 v106, 16, v112
	v_pack_b32_f16 v113, v113, v123
	v_mul_f16_sdwa v120, v106, v124 dst_sel:DWORD dst_unused:UNUSED_PAD src0_sel:DWORD src1_sel:WORD_1
	v_pack_b32_f16 v123, v208, v200
	v_fma_f16 v120, v112, v124, -v120
	v_mul_f16_sdwa v112, v112, v124 dst_sel:DWORD dst_unused:UNUSED_PAD src0_sel:DWORD src1_sel:WORD_1
	ds_write2_b32 v102, v113, v123 offset0:55 offset1:118
	v_pack_b32_f16 v113, v198, v199
	v_fmac_f16_e32 v112, v106, v124
	global_load_dword v124, v[110:111], off offset:596
	v_add_nc_u32_e32 v106, 0xe00, v125
	ds_write2_b32 v125, v113, v115 offset0:63 offset1:126
	v_pack_b32_f16 v113, v206, v207
	v_pack_b32_f16 v115, v201, v214
	;; [unrolled: 1-line block ×3, first 2 shown]
	ds_read2_b32 v[110:111], v106 offset0:112 offset1:175
	ds_write2_b32 v98, v113, v115 offset0:173 offset1:236
	v_pack_b32_f16 v113, v209, v210
	v_pack_b32_f16 v115, v116, v202
	ds_write2_b32 v102, v113, v115 offset0:181 offset1:244
	v_pack_b32_f16 v113, v212, v213
	v_pack_b32_f16 v115, v219, v117
	ds_write2_b32 v125, v113, v115 offset0:189 offset1:252
	v_pack_b32_f16 v113, v215, v216
	s_waitcnt lgkmcnt(3)
	v_lshrrev_b32_e32 v231, 16, v110
	ds_write2_b32 v103, v113, v114 offset0:43 offset1:106
	v_pack_b32_f16 v113, v217, v218
	v_pack_b32_f16 v114, v118, v225
	ds_write2_b32 v104, v113, v114 offset0:51 offset1:114
	v_pack_b32_f16 v113, v220, v221
	v_pack_b32_f16 v114, v122, v121
	;; [unrolled: 3-line block ×3, first 2 shown]
	ds_write2_b32 v103, v113, v114 offset0:169 offset1:232
	v_pack_b32_f16 v113, v226, v227
	s_waitcnt vmcnt(0)
	v_mul_f16_sdwa v232, v110, v124 dst_sel:DWORD dst_unused:UNUSED_PAD src0_sel:DWORD src1_sel:WORD_1
	v_fmac_f16_e32 v232, v231, v124
	v_mul_f16_sdwa v231, v231, v124 dst_sel:DWORD dst_unused:UNUSED_PAD src0_sel:DWORD src1_sel:WORD_1
	v_fma_f16 v110, v110, v124, -v231
	v_lshrrev_b32_e32 v124, 16, v111
	v_pack_b32_f16 v110, v110, v232
	v_mul_f16_sdwa v231, v124, v203 dst_sel:DWORD dst_unused:UNUSED_PAD src0_sel:DWORD src1_sel:WORD_1
	ds_write2_b32 v104, v113, v110 offset0:177 offset1:240
	v_fma_f16 v231, v111, v203, -v231
	v_mul_f16_sdwa v111, v111, v203 dst_sel:DWORD dst_unused:UNUSED_PAD src0_sel:DWORD src1_sel:WORD_1
	v_pack_b32_f16 v110, v229, v230
	v_fmac_f16_e32 v111, v124, v203
	ds_write2_b32 v97, v110, v112 offset0:185 offset1:248
	v_pack_b32_f16 v110, v204, v205
	v_pack_b32_f16 v111, v231, v111
	ds_write2_b32 v98, v111, v110 offset0:47 offset1:110
	s_waitcnt lgkmcnt(0)
	s_barrier
	buffer_gl0_inv
	ds_read2_b32 v[110:111], v98 offset0:110 offset1:173
	ds_read2_b32 v[112:113], v105 offset0:120 offset1:183
	ds_read2_b32 v[114:115], v125 offset1:63
	s_waitcnt lgkmcnt(1)
	v_pk_add_f16 v116, v113, v110
	v_pk_add_f16 v117, v113, v110 neg_lo:[0,1] neg_hi:[0,1]
	s_waitcnt lgkmcnt(0)
	v_pk_add_f16 v113, v114, v113
	v_pk_fma_f16 v116, v116, 0.5, v114 op_sel_hi:[1,0,1] neg_lo:[1,0,0] neg_hi:[1,0,0]
	v_pk_mul_f16 v117, 0x3aee, v117 op_sel_hi:[0,1]
	v_pk_add_f16 v110, v113, v110
	v_pk_add_f16 v124, v116, v117 op_sel:[0,1] op_sel_hi:[1,0] neg_lo:[0,1] neg_hi:[0,1]
	v_pk_add_f16 v210, v116, v117 op_sel:[0,1] op_sel_hi:[1,0]
	ds_read_b32 v211, v125 offset:6552
	ds_read2_b32 v[116:117], v102 offset0:118 offset1:181
	ds_read2_b32 v[118:119], v125 offset0:126 offset1:189
	;; [unrolled: 1-line block ×10, first 2 shown]
	s_waitcnt lgkmcnt(0)
	s_barrier
	buffer_gl0_inv
	v_bfi_b32 v113, 0xffff, v124, v210
	ds_write2_b32 v154, v110, v113 offset1:1
	v_bfi_b32 v110, 0xffff, v210, v124
	v_pk_add_f16 v113, v115, v116
	ds_write_b32 v154, v110 offset:8
	v_pk_add_f16 v110, v116, v111
	v_pk_add_f16 v113, v113, v111
	v_pk_add_f16 v111, v116, v111 neg_lo:[0,1] neg_hi:[0,1]
	v_pk_fma_f16 v110, v110, 0.5, v115 op_sel_hi:[1,0,1] neg_lo:[1,0,0] neg_hi:[1,0,0]
	v_pk_mul_f16 v111, 0x3aee, v111 op_sel_hi:[0,1]
	v_pk_add_f16 v114, v110, v111 op_sel:[0,1] op_sel_hi:[1,0] neg_lo:[0,1] neg_hi:[0,1]
	v_pk_add_f16 v110, v110, v111 op_sel:[0,1] op_sel_hi:[1,0]
	v_bfi_b32 v111, 0xffff, v114, v110
	v_bfi_b32 v110, 0xffff, v110, v114
	ds_write2_b32 v197, v113, v111 offset1:1
	ds_write_b32 v197, v110 offset:8
	v_pk_add_f16 v110, v117, v120
	v_pk_add_f16 v111, v117, v120 neg_lo:[0,1] neg_hi:[0,1]
	v_pk_add_f16 v113, v118, v117
	v_pk_fma_f16 v110, v110, 0.5, v118 op_sel_hi:[1,0,1] neg_lo:[1,0,0] neg_hi:[1,0,0]
	v_pk_mul_f16 v111, 0x3aee, v111 op_sel_hi:[0,1]
	v_pk_add_f16 v114, v110, v111 op_sel:[0,1] op_sel_hi:[1,0] neg_lo:[0,1] neg_hi:[0,1]
	v_pk_add_f16 v110, v110, v111 op_sel:[0,1] op_sel_hi:[1,0]
	v_pk_add_f16 v111, v113, v120
	v_bfi_b32 v113, 0xffff, v114, v110
	v_bfi_b32 v110, 0xffff, v110, v114
	ds_write2_b32 v196, v111, v113 offset1:1
	ds_write_b32 v196, v110 offset:8
	v_pk_add_f16 v110, v122, v121
	v_pk_add_f16 v113, v122, v121 neg_lo:[0,1] neg_hi:[0,1]
	v_pk_add_f16 v111, v119, v122
	v_pk_fma_f16 v110, v110, 0.5, v119 op_sel_hi:[1,0,1] neg_lo:[1,0,0] neg_hi:[1,0,0]
	v_pk_mul_f16 v113, 0x3aee, v113 op_sel_hi:[0,1]
	v_pk_add_f16 v111, v111, v121
	v_pk_add_f16 v114, v110, v113 op_sel:[0,1] op_sel_hi:[1,0] neg_lo:[0,1] neg_hi:[0,1]
	v_pk_add_f16 v110, v110, v113 op_sel:[0,1] op_sel_hi:[1,0]
	v_bfi_b32 v113, 0xffff, v114, v110
	v_bfi_b32 v110, 0xffff, v110, v114
	ds_write2_b32 v195, v111, v113 offset1:1
	ds_write_b32 v195, v110 offset:8
	v_pk_add_f16 v110, v123, v200
	v_pk_add_f16 v111, v123, v200 neg_lo:[0,1] neg_hi:[0,1]
	v_pk_add_f16 v113, v198, v123
	v_pk_fma_f16 v110, v110, 0.5, v198 op_sel_hi:[1,0,1] neg_lo:[1,0,0] neg_hi:[1,0,0]
	v_pk_mul_f16 v111, 0x3aee, v111 op_sel_hi:[0,1]
	v_pk_add_f16 v114, v110, v111 op_sel:[0,1] op_sel_hi:[1,0] neg_lo:[0,1] neg_hi:[0,1]
	v_pk_add_f16 v110, v110, v111 op_sel:[0,1] op_sel_hi:[1,0]
	v_pk_add_f16 v111, v113, v200
	v_bfi_b32 v113, 0xffff, v114, v110
	v_bfi_b32 v110, 0xffff, v110, v114
	ds_write2_b32 v194, v111, v113 offset1:1
	ds_write_b32 v194, v110 offset:8
	v_pk_add_f16 v110, v202, v201
	v_pk_add_f16 v113, v202, v201 neg_lo:[0,1] neg_hi:[0,1]
	v_pk_add_f16 v111, v199, v202
	v_pk_fma_f16 v110, v110, 0.5, v199 op_sel_hi:[1,0,1] neg_lo:[1,0,0] neg_hi:[1,0,0]
	v_pk_mul_f16 v113, 0x3aee, v113 op_sel_hi:[0,1]
	v_pk_add_f16 v111, v111, v201
	;; [unrolled: 24-line block ×3, first 2 shown]
	v_pk_add_f16 v114, v110, v113 op_sel:[0,1] op_sel_hi:[1,0] neg_lo:[0,1] neg_hi:[0,1]
	v_pk_add_f16 v110, v110, v113 op_sel:[0,1] op_sel_hi:[1,0]
	v_bfi_b32 v113, 0xffff, v114, v110
	v_bfi_b32 v110, 0xffff, v110, v114
	ds_write2_b32 v191, v111, v113 offset1:1
	ds_write_b32 v191, v110 offset:8
	v_pk_add_f16 v110, v209, v211
	v_pk_add_f16 v111, v112, v209
	v_pk_fma_f16 v110, v110, 0.5, v112 op_sel_hi:[1,0,1] neg_lo:[1,0,0] neg_hi:[1,0,0]
	v_pk_add_f16 v112, v209, v211 neg_lo:[0,1] neg_hi:[0,1]
	v_pk_add_f16 v111, v111, v211
	v_pk_mul_f16 v112, 0x3aee, v112 op_sel_hi:[0,1]
	v_pk_add_f16 v113, v110, v112 op_sel:[0,1] op_sel_hi:[1,0] neg_lo:[0,1] neg_hi:[0,1]
	v_pk_add_f16 v110, v110, v112 op_sel:[0,1] op_sel_hi:[1,0]
	v_bfi_b32 v112, 0xffff, v113, v110
	v_bfi_b32 v110, 0xffff, v110, v113
	ds_write2_b32 v190, v111, v112 offset1:1
	ds_write_b32 v190, v110 offset:8
	s_waitcnt lgkmcnt(0)
	s_barrier
	buffer_gl0_inv
	ds_read_b32 v112, v125 offset:6552
	ds_read2_b32 v[114:115], v106 offset0:112 offset1:175
	ds_read2_b32 v[118:119], v104 offset0:114 offset1:177
	s_waitcnt lgkmcnt(2)
	v_lshrrev_b32_e32 v111, 16, v112
	v_mul_f16_sdwa v110, v90, v112 dst_sel:DWORD dst_unused:UNUSED_PAD src0_sel:WORD_1 src1_sel:DWORD
	v_fma_f16 v110, v90, v111, -v110
	v_mul_f16_sdwa v111, v90, v111 dst_sel:DWORD dst_unused:UNUSED_PAD src0_sel:WORD_1 src1_sel:DWORD
	v_fmac_f16_e32 v111, v90, v112
	s_waitcnt lgkmcnt(1)
	v_lshrrev_b32_e32 v90, 16, v115
	v_mul_f16_sdwa v112, v89, v115 dst_sel:DWORD dst_unused:UNUSED_PAD src0_sel:WORD_1 src1_sel:DWORD
	v_fma_f16 v112, v89, v90, -v112
	v_mul_f16_sdwa v90, v89, v90 dst_sel:DWORD dst_unused:UNUSED_PAD src0_sel:WORD_1 src1_sel:DWORD
	v_fmac_f16_e32 v90, v89, v115
	ds_read2_b32 v[115:116], v109 offset0:104 offset1:167
	v_lshrrev_b32_e32 v89, 16, v114
	v_mul_f16_sdwa v113, v95, v89 dst_sel:DWORD dst_unused:UNUSED_PAD src0_sel:WORD_1 src1_sel:DWORD
	v_fmac_f16_e32 v113, v95, v114
	v_mul_f16_sdwa v114, v95, v114 dst_sel:DWORD dst_unused:UNUSED_PAD src0_sel:WORD_1 src1_sel:DWORD
	v_fma_f16 v114, v95, v89, -v114
	s_waitcnt lgkmcnt(0)
	v_lshrrev_b32_e32 v95, 16, v116
	v_mul_f16_sdwa v89, v96, v116 dst_sel:DWORD dst_unused:UNUSED_PAD src0_sel:WORD_1 src1_sel:DWORD
	v_fma_f16 v89, v96, v95, -v89
	v_mul_f16_sdwa v95, v96, v95 dst_sel:DWORD dst_unused:UNUSED_PAD src0_sel:WORD_1 src1_sel:DWORD
	v_fmac_f16_e32 v95, v96, v116
	v_lshrrev_b32_e32 v116, 16, v115
	v_mul_f16_sdwa v96, v94, v116 dst_sel:DWORD dst_unused:UNUSED_PAD src0_sel:WORD_1 src1_sel:DWORD
	v_fmac_f16_e32 v96, v94, v115
	v_mul_f16_sdwa v115, v94, v115 dst_sel:DWORD dst_unused:UNUSED_PAD src0_sel:WORD_1 src1_sel:DWORD
	v_fma_f16 v115, v94, v116, -v115
	v_lshrrev_b32_e32 v94, 16, v119
	v_mul_f16_sdwa v116, v93, v119 dst_sel:DWORD dst_unused:UNUSED_PAD src0_sel:WORD_1 src1_sel:DWORD
	v_fma_f16 v116, v93, v94, -v116
	v_mul_f16_sdwa v94, v93, v94 dst_sel:DWORD dst_unused:UNUSED_PAD src0_sel:WORD_1 src1_sel:DWORD
	v_fmac_f16_e32 v94, v93, v119
	ds_read2_b32 v[119:120], v103 offset0:106 offset1:169
	v_lshrrev_b32_e32 v93, 16, v118
	v_mul_f16_sdwa v117, v91, v93 dst_sel:DWORD dst_unused:UNUSED_PAD src0_sel:WORD_1 src1_sel:DWORD
	v_fmac_f16_e32 v117, v91, v118
	v_mul_f16_sdwa v118, v91, v118 dst_sel:DWORD dst_unused:UNUSED_PAD src0_sel:WORD_1 src1_sel:DWORD
	v_fma_f16 v118, v91, v93, -v118
	s_waitcnt lgkmcnt(0)
	v_lshrrev_b32_e32 v93, 16, v120
	v_mul_f16_sdwa v91, v92, v120 dst_sel:DWORD dst_unused:UNUSED_PAD src0_sel:WORD_1 src1_sel:DWORD
	v_fma_f16 v91, v92, v93, -v91
	v_mul_f16_sdwa v93, v92, v93 dst_sel:DWORD dst_unused:UNUSED_PAD src0_sel:WORD_1 src1_sel:DWORD
	v_fmac_f16_e32 v93, v92, v120
	v_lshrrev_b32_e32 v92, 16, v119
	v_mul_f16_sdwa v121, v88, v92 dst_sel:DWORD dst_unused:UNUSED_PAD src0_sel:WORD_1 src1_sel:DWORD
	v_fmac_f16_e32 v121, v88, v119
	v_mul_f16_sdwa v119, v88, v119 dst_sel:DWORD dst_unused:UNUSED_PAD src0_sel:WORD_1 src1_sel:DWORD
	v_fma_f16 v92, v88, v92, -v119
	ds_read2_b32 v[119:120], v108 offset0:116 offset1:179
	s_waitcnt lgkmcnt(0)
	v_lshrrev_b32_e32 v88, 16, v120
	v_mul_f16_sdwa v122, v87, v120 dst_sel:DWORD dst_unused:UNUSED_PAD src0_sel:WORD_1 src1_sel:DWORD
	v_mul_f16_sdwa v123, v87, v88 dst_sel:DWORD dst_unused:UNUSED_PAD src0_sel:WORD_1 src1_sel:DWORD
	v_fma_f16 v122, v87, v88, -v122
	v_mul_f16_sdwa v88, v85, v119 dst_sel:DWORD dst_unused:UNUSED_PAD src0_sel:WORD_1 src1_sel:DWORD
	v_fmac_f16_e32 v123, v87, v120
	v_lshrrev_b32_e32 v87, 16, v119
	v_mul_f16_sdwa v120, v85, v87 dst_sel:DWORD dst_unused:UNUSED_PAD src0_sel:WORD_1 src1_sel:DWORD
	v_fmac_f16_e32 v120, v85, v119
	v_fma_f16 v119, v85, v87, -v88
	ds_read2_b32 v[87:88], v101 offset0:108 offset1:171
	s_waitcnt lgkmcnt(0)
	v_lshrrev_b32_e32 v85, 16, v88
	v_mul_f16_sdwa v124, v86, v88 dst_sel:DWORD dst_unused:UNUSED_PAD src0_sel:WORD_1 src1_sel:DWORD
	v_mul_f16_sdwa v154, v86, v85 dst_sel:DWORD dst_unused:UNUSED_PAD src0_sel:WORD_1 src1_sel:DWORD
	v_fma_f16 v124, v86, v85, -v124
	v_lshrrev_b32_e32 v85, 16, v87
	v_fmac_f16_e32 v154, v86, v88
	v_mul_f16_sdwa v86, v84, v87 dst_sel:DWORD dst_unused:UNUSED_PAD src0_sel:WORD_1 src1_sel:DWORD
	v_mul_f16_sdwa v190, v84, v85 dst_sel:DWORD dst_unused:UNUSED_PAD src0_sel:WORD_1 src1_sel:DWORD
	v_fma_f16 v191, v84, v85, -v86
	v_fmac_f16_e32 v190, v84, v87
	ds_read2_b32 v[84:85], v102 offset0:118 offset1:181
	s_waitcnt lgkmcnt(0)
	v_lshrrev_b32_e32 v86, 16, v85
	v_mul_f16_sdwa v87, v83, v85 dst_sel:DWORD dst_unused:UNUSED_PAD src0_sel:WORD_1 src1_sel:DWORD
	v_mul_f16_sdwa v193, v83, v86 dst_sel:DWORD dst_unused:UNUSED_PAD src0_sel:WORD_1 src1_sel:DWORD
	v_fma_f16 v192, v83, v86, -v87
	v_fmac_f16_e32 v193, v83, v85
	v_lshrrev_b32_e32 v83, 16, v84
	v_mul_f16_sdwa v194, v81, v83 dst_sel:DWORD dst_unused:UNUSED_PAD src0_sel:WORD_1 src1_sel:DWORD
	v_fmac_f16_e32 v194, v81, v84
	v_mul_f16_sdwa v84, v81, v84 dst_sel:DWORD dst_unused:UNUSED_PAD src0_sel:WORD_1 src1_sel:DWORD
	v_fma_f16 v195, v81, v83, -v84
	ds_read2_b32 v[83:84], v98 offset0:110 offset1:173
	s_waitcnt lgkmcnt(0)
	v_lshrrev_b32_e32 v81, 16, v84
	v_mul_f16_sdwa v85, v82, v84 dst_sel:DWORD dst_unused:UNUSED_PAD src0_sel:WORD_1 src1_sel:DWORD
	v_mul_f16_sdwa v197, v82, v81 dst_sel:DWORD dst_unused:UNUSED_PAD src0_sel:WORD_1 src1_sel:DWORD
	v_fma_f16 v196, v82, v81, -v85
	v_lshrrev_b32_e32 v81, 16, v83
	v_fmac_f16_e32 v197, v82, v84
	v_mul_f16_sdwa v82, v80, v83 dst_sel:DWORD dst_unused:UNUSED_PAD src0_sel:WORD_1 src1_sel:DWORD
	v_mul_f16_sdwa v84, v80, v81 dst_sel:DWORD dst_unused:UNUSED_PAD src0_sel:WORD_1 src1_sel:DWORD
	v_fmac_f16_e32 v84, v80, v83
	v_fma_f16 v83, v80, v81, -v82
	ds_read2_b32 v[80:81], v105 offset0:120 offset1:183
	s_waitcnt lgkmcnt(0)
	v_lshrrev_b32_e32 v82, 16, v81
	v_mul_f16_sdwa v85, v79, v81 dst_sel:DWORD dst_unused:UNUSED_PAD src0_sel:WORD_1 src1_sel:DWORD
	v_mul_f16_sdwa v86, v79, v82 dst_sel:DWORD dst_unused:UNUSED_PAD src0_sel:WORD_1 src1_sel:DWORD
	v_fma_f16 v85, v79, v82, -v85
	v_fmac_f16_e32 v86, v79, v81
	ds_read2_b32 v[81:82], v125 offset1:63
	v_add_f16_e32 v88, v85, v83
	v_sub_f16_e32 v198, v85, v83
	v_sub_f16_e32 v199, v86, v84
	s_waitcnt lgkmcnt(0)
	v_lshrrev_b32_e32 v79, 16, v81
	v_add_f16_e32 v87, v79, v85
	v_add_f16_e32 v85, v81, v86
	v_fmac_f16_e32 v79, -0.5, v88
	v_add_f16_e32 v83, v87, v83
	v_add_f16_e32 v87, v86, v84
	;; [unrolled: 1-line block ×3, first 2 shown]
	v_fmamk_f16 v84, v199, 0x3aee, v79
	v_fmac_f16_e32 v79, 0xbaee, v199
	v_fma_f16 v81, -0.5, v87, v81
	v_pack_b32_f16 v200, v85, v83
	v_fmamk_f16 v83, v198, 0xbaee, v81
	v_fmac_f16_e32 v81, 0x3aee, v198
	v_pack_b32_f16 v201, v83, v84
	v_pack_b32_f16 v79, v81, v79
	ds_read2_b32 v[83:84], v125 offset0:126 offset1:189
	ds_read2_b32 v[85:86], v107 offset0:124 offset1:187
	;; [unrolled: 1-line block ×3, first 2 shown]
	s_waitcnt lgkmcnt(0)
	s_barrier
	buffer_gl0_inv
	ds_write_b32 v189, v79 offset:24
	v_add_f16_e32 v79, v194, v197
	ds_write2_b32 v189, v200, v201 offset1:3
	v_lshrrev_b32_e32 v81, 16, v82
	v_add_f16_e32 v189, v82, v194
	v_fmac_f16_e32 v82, -0.5, v79
	v_sub_f16_e32 v79, v195, v196
	v_fmamk_f16 v198, v79, 0xbaee, v82
	v_fmac_f16_e32 v82, 0x3aee, v79
	v_add_f16_e32 v79, v195, v196
	v_add_f16_e32 v195, v81, v195
	v_fmac_f16_e32 v81, -0.5, v79
	v_sub_f16_e32 v79, v194, v197
	v_fmamk_f16 v194, v79, 0x3aee, v81
	v_fmac_f16_e32 v81, 0xbaee, v79
	v_pack_b32_f16 v79, v82, v81
	v_add_f16_e32 v81, v189, v197
	v_add_f16_e32 v82, v195, v196
	;; [unrolled: 1-line block ×3, first 2 shown]
	v_pack_b32_f16 v81, v81, v82
	v_pack_b32_f16 v82, v198, v194
	ds_write2_b32 v188, v81, v82 offset1:3
	ds_write_b32 v188, v79 offset:24
	v_lshrrev_b32_e32 v79, 16, v83
	v_add_f16_e32 v82, v192, v191
	v_sub_f16_e32 v188, v192, v191
	v_add_f16_e32 v81, v79, v192
	v_fmac_f16_e32 v79, -0.5, v82
	v_add_f16_e32 v82, v83, v193
	v_add_f16_e32 v81, v81, v191
	;; [unrolled: 1-line block ×3, first 2 shown]
	v_sub_f16_e32 v190, v193, v190
	v_pack_b32_f16 v81, v82, v81
	v_fma_f16 v82, -0.5, v189, v83
	v_fmamk_f16 v189, v190, 0x3aee, v79
	v_fmac_f16_e32 v79, 0xbaee, v190
	v_fmamk_f16 v83, v188, 0xbaee, v82
	v_fmac_f16_e32 v82, 0x3aee, v188
	v_pack_b32_f16 v83, v83, v189
	v_pack_b32_f16 v79, v82, v79
	v_add_f16_e32 v82, v84, v120
	ds_write2_b32 v187, v81, v83 offset1:3
	ds_write_b32 v187, v79 offset:24
	v_add_f16_e32 v79, v120, v154
	v_lshrrev_b32_e32 v81, 16, v84
	v_fmac_f16_e32 v84, -0.5, v79
	v_sub_f16_e32 v79, v119, v124
	v_fmamk_f16 v83, v79, 0xbaee, v84
	v_fmac_f16_e32 v84, 0x3aee, v79
	v_add_f16_e32 v79, v119, v124
	v_add_f16_e32 v119, v81, v119
	v_fmac_f16_e32 v81, -0.5, v79
	v_sub_f16_e32 v79, v120, v154
	v_fmamk_f16 v120, v79, 0x3aee, v81
	v_fmac_f16_e32 v81, 0xbaee, v79
	v_pack_b32_f16 v79, v84, v81
	v_add_f16_e32 v81, v82, v154
	v_add_f16_e32 v82, v119, v124
	v_add_f16_e32 v84, v123, v121
	v_pack_b32_f16 v81, v81, v82
	v_pack_b32_f16 v82, v83, v120
	ds_write2_b32 v186, v81, v82 offset1:3
	ds_write_b32 v186, v79 offset:24
	v_lshrrev_b32_e32 v79, 16, v85
	v_add_f16_e32 v82, v122, v92
	v_sub_f16_e32 v83, v122, v92
	v_add_f16_e32 v81, v79, v122
	v_fmac_f16_e32 v79, -0.5, v82
	v_add_f16_e32 v82, v85, v123
	v_add_f16_e32 v81, v81, v92
	v_sub_f16_e32 v92, v123, v121
	v_add_f16_e32 v82, v82, v121
	v_pack_b32_f16 v81, v82, v81
	v_fma_f16 v82, -0.5, v84, v85
	v_fmamk_f16 v85, v92, 0x3aee, v79
	v_fmac_f16_e32 v79, 0xbaee, v92
	v_fmamk_f16 v84, v83, 0xbaee, v82
	v_fmac_f16_e32 v82, 0x3aee, v83
	v_pack_b32_f16 v84, v84, v85
	v_pack_b32_f16 v79, v82, v79
	v_add_f16_e32 v82, v86, v117
	ds_write2_b32 v185, v81, v84 offset1:3
	ds_write_b32 v185, v79 offset:24
	v_add_f16_e32 v79, v117, v93
	v_lshrrev_b32_e32 v81, 16, v86
	v_fmac_f16_e32 v86, -0.5, v79
	v_sub_f16_e32 v79, v118, v91
	v_add_f16_e32 v84, v81, v118
	v_fmamk_f16 v83, v79, 0xbaee, v86
	v_fmac_f16_e32 v86, 0x3aee, v79
	v_add_f16_e32 v79, v118, v91
	v_fmac_f16_e32 v81, -0.5, v79
	v_sub_f16_e32 v79, v117, v93
	v_fmamk_f16 v85, v79, 0x3aee, v81
	v_fmac_f16_e32 v81, 0xbaee, v79
	v_pack_b32_f16 v79, v86, v81
	v_add_f16_e32 v81, v82, v93
	v_add_f16_e32 v82, v84, v91
	;; [unrolled: 1-line block ×3, first 2 shown]
	v_pack_b32_f16 v81, v81, v82
	v_pack_b32_f16 v82, v83, v85
	ds_write2_b32 v184, v81, v82 offset1:3
	ds_write_b32 v184, v79 offset:24
	v_lshrrev_b32_e32 v79, 16, v87
	v_add_f16_e32 v82, v116, v115
	v_sub_f16_e32 v83, v116, v115
	v_sub_f16_e32 v85, v94, v96
	v_add_f16_e32 v81, v79, v116
	v_fmac_f16_e32 v79, -0.5, v82
	v_add_f16_e32 v82, v87, v94
	v_add_f16_e32 v81, v81, v115
	v_fmamk_f16 v86, v85, 0x3aee, v79
	v_add_f16_e32 v82, v82, v96
	v_fmac_f16_e32 v79, 0xbaee, v85
	v_pack_b32_f16 v81, v82, v81
	v_fma_f16 v82, -0.5, v84, v87
	v_fmamk_f16 v84, v83, 0xbaee, v82
	v_fmac_f16_e32 v82, 0x3aee, v83
	v_pack_b32_f16 v84, v84, v86
	v_pack_b32_f16 v79, v82, v79
	v_add_f16_e32 v82, v88, v113
	ds_write2_b32 v183, v81, v84 offset1:3
	ds_write_b32 v183, v79 offset:24
	v_add_f16_e32 v79, v113, v95
	v_lshrrev_b32_e32 v81, 16, v88
	v_fmac_f16_e32 v88, -0.5, v79
	v_sub_f16_e32 v79, v114, v89
	v_add_f16_e32 v84, v81, v114
	v_fmamk_f16 v83, v79, 0xbaee, v88
	v_fmac_f16_e32 v88, 0x3aee, v79
	v_add_f16_e32 v79, v114, v89
	v_fmac_f16_e32 v81, -0.5, v79
	v_sub_f16_e32 v79, v113, v95
	v_fmamk_f16 v85, v79, 0x3aee, v81
	v_fmac_f16_e32 v81, 0xbaee, v79
	v_pack_b32_f16 v79, v88, v81
	v_add_f16_e32 v81, v82, v95
	v_add_f16_e32 v82, v84, v89
	v_pack_b32_f16 v81, v81, v82
	v_pack_b32_f16 v82, v83, v85
	ds_write2_b32 v182, v81, v82 offset1:3
	ds_write_b32 v182, v79 offset:24
	v_add_f16_e32 v79, v90, v111
	v_lshrrev_b32_e32 v81, 16, v80
	v_add_f16_e32 v82, v80, v90
	v_fmac_f16_e32 v80, -0.5, v79
	v_sub_f16_e32 v79, v112, v110
	v_add_f16_e32 v84, v81, v112
	v_fmamk_f16 v83, v79, 0xbaee, v80
	v_fmac_f16_e32 v80, 0x3aee, v79
	v_add_f16_e32 v79, v112, v110
	v_fmac_f16_e32 v81, -0.5, v79
	v_sub_f16_e32 v79, v90, v111
	v_fmamk_f16 v85, v79, 0x3aee, v81
	v_fmac_f16_e32 v81, 0xbaee, v79
	v_pack_b32_f16 v79, v80, v81
	v_add_f16_e32 v80, v82, v111
	v_add_f16_e32 v81, v84, v110
	v_pack_b32_f16 v80, v80, v81
	v_pack_b32_f16 v81, v83, v85
	ds_write2_b32 v181, v80, v81 offset1:3
	ds_write_b32 v181, v79 offset:24
	s_waitcnt lgkmcnt(0)
	s_barrier
	buffer_gl0_inv
	ds_read_b32 v80, v125 offset:6552
	ds_read2_b32 v[83:84], v106 offset0:112 offset1:175
	ds_read2_b32 v[87:88], v104 offset0:114 offset1:177
	s_waitcnt lgkmcnt(2)
	v_lshrrev_b32_e32 v81, 16, v80
	v_mul_f16_sdwa v79, v78, v81 dst_sel:DWORD dst_unused:UNUSED_PAD src0_sel:WORD_1 src1_sel:DWORD
	v_fmac_f16_e32 v79, v78, v80
	v_mul_f16_sdwa v80, v78, v80 dst_sel:DWORD dst_unused:UNUSED_PAD src0_sel:WORD_1 src1_sel:DWORD
	v_fma_f16 v78, v78, v81, -v80
	s_waitcnt lgkmcnt(1)
	v_lshrrev_b32_e32 v80, 16, v84
	v_mul_f16_sdwa v81, v77, v84 dst_sel:DWORD dst_unused:UNUSED_PAD src0_sel:WORD_1 src1_sel:DWORD
	v_fma_f16 v81, v77, v80, -v81
	v_mul_f16_sdwa v80, v77, v80 dst_sel:DWORD dst_unused:UNUSED_PAD src0_sel:WORD_1 src1_sel:DWORD
	v_fmac_f16_e32 v80, v77, v84
	ds_read2_b32 v[84:85], v109 offset0:104 offset1:167
	v_lshrrev_b32_e32 v77, 16, v83
	v_mul_f16_sdwa v82, v75, v77 dst_sel:DWORD dst_unused:UNUSED_PAD src0_sel:WORD_1 src1_sel:DWORD
	v_fmac_f16_e32 v82, v75, v83
	v_mul_f16_sdwa v83, v75, v83 dst_sel:DWORD dst_unused:UNUSED_PAD src0_sel:WORD_1 src1_sel:DWORD
	v_fma_f16 v83, v75, v77, -v83
	s_waitcnt lgkmcnt(0)
	v_lshrrev_b32_e32 v77, 16, v85
	v_mul_f16_sdwa v75, v76, v85 dst_sel:DWORD dst_unused:UNUSED_PAD src0_sel:WORD_1 src1_sel:DWORD
	v_fma_f16 v75, v76, v77, -v75
	v_mul_f16_sdwa v77, v76, v77 dst_sel:DWORD dst_unused:UNUSED_PAD src0_sel:WORD_1 src1_sel:DWORD
	v_fmac_f16_e32 v77, v76, v85
	v_lshrrev_b32_e32 v85, 16, v84
	v_mul_f16_sdwa v76, v74, v85 dst_sel:DWORD dst_unused:UNUSED_PAD src0_sel:WORD_1 src1_sel:DWORD
	v_fmac_f16_e32 v76, v74, v84
	v_mul_f16_sdwa v84, v74, v84 dst_sel:DWORD dst_unused:UNUSED_PAD src0_sel:WORD_1 src1_sel:DWORD
	v_fma_f16 v84, v74, v85, -v84
	v_lshrrev_b32_e32 v74, 16, v88
	v_mul_f16_sdwa v85, v73, v88 dst_sel:DWORD dst_unused:UNUSED_PAD src0_sel:WORD_1 src1_sel:DWORD
	v_fma_f16 v85, v73, v74, -v85
	v_mul_f16_sdwa v74, v73, v74 dst_sel:DWORD dst_unused:UNUSED_PAD src0_sel:WORD_1 src1_sel:DWORD
	v_fmac_f16_e32 v74, v73, v88
	ds_read2_b32 v[88:89], v103 offset0:106 offset1:169
	v_lshrrev_b32_e32 v73, 16, v87
	v_mul_f16_sdwa v86, v71, v73 dst_sel:DWORD dst_unused:UNUSED_PAD src0_sel:WORD_1 src1_sel:DWORD
	v_fmac_f16_e32 v86, v71, v87
	v_mul_f16_sdwa v87, v71, v87 dst_sel:DWORD dst_unused:UNUSED_PAD src0_sel:WORD_1 src1_sel:DWORD
	v_fma_f16 v87, v71, v73, -v87
	s_waitcnt lgkmcnt(0)
	v_lshrrev_b32_e32 v73, 16, v89
	v_mul_f16_sdwa v71, v72, v89 dst_sel:DWORD dst_unused:UNUSED_PAD src0_sel:WORD_1 src1_sel:DWORD
	v_fma_f16 v71, v72, v73, -v71
	v_mul_f16_sdwa v73, v72, v73 dst_sel:DWORD dst_unused:UNUSED_PAD src0_sel:WORD_1 src1_sel:DWORD
	v_fmac_f16_e32 v73, v72, v89
	v_lshrrev_b32_e32 v72, 16, v88
	v_mul_f16_sdwa v90, v70, v72 dst_sel:DWORD dst_unused:UNUSED_PAD src0_sel:WORD_1 src1_sel:DWORD
	v_fmac_f16_e32 v90, v70, v88
	v_mul_f16_sdwa v88, v70, v88 dst_sel:DWORD dst_unused:UNUSED_PAD src0_sel:WORD_1 src1_sel:DWORD
	v_fma_f16 v72, v70, v72, -v88
	ds_read2_b32 v[88:89], v108 offset0:116 offset1:179
	s_waitcnt lgkmcnt(0)
	v_lshrrev_b32_e32 v70, 16, v89
	v_mul_f16_sdwa v91, v69, v89 dst_sel:DWORD dst_unused:UNUSED_PAD src0_sel:WORD_1 src1_sel:DWORD
	v_mul_f16_sdwa v92, v69, v70 dst_sel:DWORD dst_unused:UNUSED_PAD src0_sel:WORD_1 src1_sel:DWORD
	v_fma_f16 v91, v69, v70, -v91
	v_mul_f16_sdwa v70, v67, v88 dst_sel:DWORD dst_unused:UNUSED_PAD src0_sel:WORD_1 src1_sel:DWORD
	v_fmac_f16_e32 v92, v69, v89
	v_lshrrev_b32_e32 v69, 16, v88
	v_mul_f16_sdwa v89, v67, v69 dst_sel:DWORD dst_unused:UNUSED_PAD src0_sel:WORD_1 src1_sel:DWORD
	v_fmac_f16_e32 v89, v67, v88
	v_fma_f16 v88, v67, v69, -v70
	ds_read2_b32 v[69:70], v101 offset0:108 offset1:171
	s_waitcnt lgkmcnt(0)
	v_lshrrev_b32_e32 v67, 16, v70
	v_mul_f16_sdwa v93, v68, v70 dst_sel:DWORD dst_unused:UNUSED_PAD src0_sel:WORD_1 src1_sel:DWORD
	v_mul_f16_sdwa v94, v68, v67 dst_sel:DWORD dst_unused:UNUSED_PAD src0_sel:WORD_1 src1_sel:DWORD
	v_fma_f16 v93, v68, v67, -v93
	v_lshrrev_b32_e32 v67, 16, v69
	v_fmac_f16_e32 v94, v68, v70
	v_mul_f16_sdwa v68, v66, v69 dst_sel:DWORD dst_unused:UNUSED_PAD src0_sel:WORD_1 src1_sel:DWORD
	v_mul_f16_sdwa v95, v66, v67 dst_sel:DWORD dst_unused:UNUSED_PAD src0_sel:WORD_1 src1_sel:DWORD
	v_fma_f16 v96, v66, v67, -v68
	v_fmac_f16_e32 v95, v66, v69
	ds_read2_b32 v[66:67], v102 offset0:118 offset1:181
	s_waitcnt lgkmcnt(0)
	v_lshrrev_b32_e32 v68, 16, v67
	v_mul_f16_sdwa v69, v65, v67 dst_sel:DWORD dst_unused:UNUSED_PAD src0_sel:WORD_1 src1_sel:DWORD
	v_mul_f16_sdwa v111, v65, v68 dst_sel:DWORD dst_unused:UNUSED_PAD src0_sel:WORD_1 src1_sel:DWORD
	v_fma_f16 v110, v65, v68, -v69
	v_fmac_f16_e32 v111, v65, v67
	v_lshrrev_b32_e32 v65, 16, v66
	v_mul_f16_sdwa v112, v63, v65 dst_sel:DWORD dst_unused:UNUSED_PAD src0_sel:WORD_1 src1_sel:DWORD
	v_fmac_f16_e32 v112, v63, v66
	v_mul_f16_sdwa v66, v63, v66 dst_sel:DWORD dst_unused:UNUSED_PAD src0_sel:WORD_1 src1_sel:DWORD
	v_fma_f16 v113, v63, v65, -v66
	ds_read2_b32 v[65:66], v98 offset0:110 offset1:173
	s_waitcnt lgkmcnt(0)
	v_lshrrev_b32_e32 v63, 16, v66
	v_mul_f16_sdwa v67, v64, v66 dst_sel:DWORD dst_unused:UNUSED_PAD src0_sel:WORD_1 src1_sel:DWORD
	v_mul_f16_sdwa v115, v64, v63 dst_sel:DWORD dst_unused:UNUSED_PAD src0_sel:WORD_1 src1_sel:DWORD
	v_fma_f16 v114, v64, v63, -v67
	v_lshrrev_b32_e32 v63, 16, v65
	v_fmac_f16_e32 v115, v64, v66
	v_mul_f16_sdwa v64, v62, v65 dst_sel:DWORD dst_unused:UNUSED_PAD src0_sel:WORD_1 src1_sel:DWORD
	v_mul_f16_sdwa v66, v62, v63 dst_sel:DWORD dst_unused:UNUSED_PAD src0_sel:WORD_1 src1_sel:DWORD
	v_fmac_f16_e32 v66, v62, v65
	v_fma_f16 v65, v62, v63, -v64
	ds_read2_b32 v[62:63], v105 offset0:120 offset1:183
	s_waitcnt lgkmcnt(0)
	v_lshrrev_b32_e32 v64, 16, v63
	v_mul_f16_sdwa v67, v61, v63 dst_sel:DWORD dst_unused:UNUSED_PAD src0_sel:WORD_1 src1_sel:DWORD
	v_mul_f16_sdwa v68, v61, v64 dst_sel:DWORD dst_unused:UNUSED_PAD src0_sel:WORD_1 src1_sel:DWORD
	v_fma_f16 v67, v61, v64, -v67
	v_fmac_f16_e32 v68, v61, v63
	ds_read2_b32 v[63:64], v125 offset1:63
	v_add_f16_e32 v70, v67, v65
	v_sub_f16_e32 v116, v67, v65
	v_sub_f16_e32 v117, v68, v66
	s_waitcnt lgkmcnt(0)
	v_lshrrev_b32_e32 v61, 16, v63
	v_add_f16_e32 v69, v61, v67
	v_add_f16_e32 v67, v63, v68
	v_fmac_f16_e32 v61, -0.5, v70
	v_add_f16_e32 v65, v69, v65
	v_add_f16_e32 v69, v68, v66
	;; [unrolled: 1-line block ×3, first 2 shown]
	v_fmamk_f16 v66, v117, 0x3aee, v61
	v_fmac_f16_e32 v61, 0xbaee, v117
	v_fma_f16 v63, -0.5, v69, v63
	v_pack_b32_f16 v118, v67, v65
	v_fmamk_f16 v65, v116, 0xbaee, v63
	v_fmac_f16_e32 v63, 0x3aee, v116
	v_add_f16_e32 v116, v64, v112
	v_pack_b32_f16 v119, v65, v66
	v_pack_b32_f16 v61, v63, v61
	ds_read2_b32 v[65:66], v125 offset0:126 offset1:189
	ds_read2_b32 v[67:68], v107 offset0:124 offset1:187
	;; [unrolled: 1-line block ×3, first 2 shown]
	s_waitcnt lgkmcnt(0)
	s_barrier
	buffer_gl0_inv
	ds_write_b32 v178, v61 offset:72
	v_add_f16_e32 v61, v112, v115
	v_lshrrev_b32_e32 v63, 16, v64
	ds_write2_b32 v178, v118, v119 offset1:9
	v_fmac_f16_e32 v64, -0.5, v61
	v_sub_f16_e32 v61, v113, v114
	v_fmamk_f16 v117, v61, 0xbaee, v64
	v_fmac_f16_e32 v64, 0x3aee, v61
	v_add_f16_e32 v61, v113, v114
	v_add_f16_e32 v113, v63, v113
	v_fmac_f16_e32 v63, -0.5, v61
	v_sub_f16_e32 v61, v112, v115
	v_fmamk_f16 v112, v61, 0x3aee, v63
	v_fmac_f16_e32 v63, 0xbaee, v61
	v_pack_b32_f16 v61, v64, v63
	v_add_f16_e32 v63, v116, v115
	v_add_f16_e32 v64, v113, v114
	v_pack_b32_f16 v63, v63, v64
	v_pack_b32_f16 v64, v117, v112
	ds_write2_b32 v177, v63, v64 offset1:9
	ds_write_b32 v177, v61 offset:72
	v_lshrrev_b32_e32 v61, 16, v65
	v_add_f16_e32 v64, v110, v96
	v_add_f16_e32 v63, v61, v110
	v_fmac_f16_e32 v61, -0.5, v64
	v_add_f16_e32 v64, v65, v111
	v_sub_f16_e32 v110, v110, v96
	v_add_f16_e32 v63, v63, v96
	v_add_f16_e32 v96, v111, v95
	;; [unrolled: 1-line block ×3, first 2 shown]
	v_sub_f16_e32 v95, v111, v95
	v_pack_b32_f16 v63, v64, v63
	v_fma_f16 v64, -0.5, v96, v65
	v_fmamk_f16 v96, v95, 0x3aee, v61
	v_fmac_f16_e32 v61, 0xbaee, v95
	v_fmamk_f16 v65, v110, 0xbaee, v64
	v_fmac_f16_e32 v64, 0x3aee, v110
	v_pack_b32_f16 v65, v65, v96
	v_pack_b32_f16 v61, v64, v61
	v_add_f16_e32 v64, v66, v89
	ds_write2_b32 v176, v63, v65 offset1:9
	ds_write_b32 v176, v61 offset:72
	v_add_f16_e32 v61, v89, v94
	v_lshrrev_b32_e32 v63, 16, v66
	v_fmac_f16_e32 v66, -0.5, v61
	v_sub_f16_e32 v61, v88, v93
	v_fmamk_f16 v65, v61, 0xbaee, v66
	v_fmac_f16_e32 v66, 0x3aee, v61
	v_add_f16_e32 v61, v88, v93
	v_add_f16_e32 v88, v63, v88
	v_fmac_f16_e32 v63, -0.5, v61
	v_sub_f16_e32 v61, v89, v94
	v_fmamk_f16 v89, v61, 0x3aee, v63
	v_fmac_f16_e32 v63, 0xbaee, v61
	v_pack_b32_f16 v61, v66, v63
	v_add_f16_e32 v63, v64, v94
	v_add_f16_e32 v64, v88, v93
	;; [unrolled: 1-line block ×3, first 2 shown]
	v_pack_b32_f16 v63, v63, v64
	v_pack_b32_f16 v64, v65, v89
	ds_write2_b32 v175, v63, v64 offset1:9
	ds_write_b32 v175, v61 offset:72
	v_lshrrev_b32_e32 v61, 16, v67
	v_add_f16_e32 v64, v91, v72
	v_sub_f16_e32 v65, v91, v72
	v_add_f16_e32 v63, v61, v91
	v_fmac_f16_e32 v61, -0.5, v64
	v_add_f16_e32 v64, v67, v92
	v_add_f16_e32 v63, v63, v72
	v_sub_f16_e32 v72, v92, v90
	v_add_f16_e32 v64, v64, v90
	v_pack_b32_f16 v63, v64, v63
	v_fma_f16 v64, -0.5, v66, v67
	v_fmamk_f16 v67, v72, 0x3aee, v61
	v_fmac_f16_e32 v61, 0xbaee, v72
	v_fmamk_f16 v66, v65, 0xbaee, v64
	v_fmac_f16_e32 v64, 0x3aee, v65
	v_pack_b32_f16 v66, v66, v67
	v_pack_b32_f16 v61, v64, v61
	v_add_f16_e32 v64, v68, v86
	ds_write2_b32 v174, v63, v66 offset1:9
	ds_write_b32 v174, v61 offset:72
	v_add_f16_e32 v61, v86, v73
	v_lshrrev_b32_e32 v63, 16, v68
	v_fmac_f16_e32 v68, -0.5, v61
	v_sub_f16_e32 v61, v87, v71
	v_add_f16_e32 v66, v63, v87
	v_fmamk_f16 v65, v61, 0xbaee, v68
	v_fmac_f16_e32 v68, 0x3aee, v61
	v_add_f16_e32 v61, v87, v71
	v_fmac_f16_e32 v63, -0.5, v61
	v_sub_f16_e32 v61, v86, v73
	v_fmamk_f16 v67, v61, 0x3aee, v63
	v_fmac_f16_e32 v63, 0xbaee, v61
	v_pack_b32_f16 v61, v68, v63
	v_add_f16_e32 v63, v64, v73
	v_add_f16_e32 v64, v66, v71
	;; [unrolled: 1-line block ×3, first 2 shown]
	v_pack_b32_f16 v63, v63, v64
	v_pack_b32_f16 v64, v65, v67
	ds_write2_b32 v173, v63, v64 offset1:9
	ds_write_b32 v173, v61 offset:72
	v_lshrrev_b32_e32 v61, 16, v69
	v_add_f16_e32 v64, v85, v84
	v_sub_f16_e32 v65, v85, v84
	v_sub_f16_e32 v67, v74, v76
	v_add_f16_e32 v63, v61, v85
	v_fmac_f16_e32 v61, -0.5, v64
	v_add_f16_e32 v64, v69, v74
	v_add_f16_e32 v63, v63, v84
	v_fmamk_f16 v68, v67, 0x3aee, v61
	v_add_f16_e32 v64, v64, v76
	v_fmac_f16_e32 v61, 0xbaee, v67
	v_pack_b32_f16 v63, v64, v63
	v_fma_f16 v64, -0.5, v66, v69
	v_fmamk_f16 v66, v65, 0xbaee, v64
	v_fmac_f16_e32 v64, 0x3aee, v65
	v_pack_b32_f16 v66, v66, v68
	v_pack_b32_f16 v61, v64, v61
	v_add_f16_e32 v64, v70, v82
	ds_write2_b32 v172, v63, v66 offset1:9
	ds_write_b32 v172, v61 offset:72
	v_add_f16_e32 v61, v82, v77
	v_lshrrev_b32_e32 v63, 16, v70
	v_fmac_f16_e32 v70, -0.5, v61
	v_sub_f16_e32 v61, v83, v75
	v_add_f16_e32 v66, v63, v83
	v_fmamk_f16 v65, v61, 0xbaee, v70
	v_fmac_f16_e32 v70, 0x3aee, v61
	v_add_f16_e32 v61, v83, v75
	v_fmac_f16_e32 v63, -0.5, v61
	v_sub_f16_e32 v61, v82, v77
	v_fmamk_f16 v67, v61, 0x3aee, v63
	v_fmac_f16_e32 v63, 0xbaee, v61
	v_pack_b32_f16 v61, v70, v63
	v_add_f16_e32 v63, v64, v77
	v_add_f16_e32 v64, v66, v75
	v_pack_b32_f16 v63, v63, v64
	v_pack_b32_f16 v64, v65, v67
	ds_write2_b32 v179, v63, v64 offset1:9
	ds_write_b32 v179, v61 offset:72
	v_add_f16_e32 v61, v80, v79
	v_lshrrev_b32_e32 v63, 16, v62
	v_add_f16_e32 v64, v62, v80
	v_fmac_f16_e32 v62, -0.5, v61
	v_sub_f16_e32 v61, v81, v78
	v_add_f16_e32 v66, v63, v81
	v_fmamk_f16 v65, v61, 0xbaee, v62
	v_fmac_f16_e32 v62, 0x3aee, v61
	v_add_f16_e32 v61, v81, v78
	v_fmac_f16_e32 v63, -0.5, v61
	v_sub_f16_e32 v61, v80, v79
	v_fmamk_f16 v67, v61, 0x3aee, v63
	v_fmac_f16_e32 v63, 0xbaee, v61
	v_pack_b32_f16 v61, v62, v63
	v_add_f16_e32 v62, v64, v79
	v_add_f16_e32 v63, v66, v78
	v_pack_b32_f16 v62, v62, v63
	v_pack_b32_f16 v63, v65, v67
	ds_write2_b32 v180, v62, v63 offset1:9
	ds_write_b32 v180, v61 offset:72
	s_waitcnt lgkmcnt(0)
	s_barrier
	buffer_gl0_inv
	ds_read_b32 v62, v125 offset:6552
	ds_read2_b32 v[65:66], v106 offset0:112 offset1:175
	ds_read2_b32 v[69:70], v104 offset0:114 offset1:177
	s_waitcnt lgkmcnt(2)
	v_lshrrev_b32_e32 v63, 16, v62
	v_mul_f16_sdwa v61, v50, v63 dst_sel:DWORD dst_unused:UNUSED_PAD src0_sel:WORD_1 src1_sel:DWORD
	v_fmac_f16_e32 v61, v50, v62
	v_mul_f16_sdwa v62, v50, v62 dst_sel:DWORD dst_unused:UNUSED_PAD src0_sel:WORD_1 src1_sel:DWORD
	v_fma_f16 v50, v50, v63, -v62
	s_waitcnt lgkmcnt(1)
	v_lshrrev_b32_e32 v62, 16, v66
	v_mul_f16_sdwa v63, v49, v66 dst_sel:DWORD dst_unused:UNUSED_PAD src0_sel:WORD_1 src1_sel:DWORD
	v_fma_f16 v63, v49, v62, -v63
	v_mul_f16_sdwa v62, v49, v62 dst_sel:DWORD dst_unused:UNUSED_PAD src0_sel:WORD_1 src1_sel:DWORD
	v_fmac_f16_e32 v62, v49, v66
	ds_read2_b32 v[66:67], v109 offset0:104 offset1:167
	v_lshrrev_b32_e32 v49, 16, v65
	v_mul_f16_sdwa v64, v45, v49 dst_sel:DWORD dst_unused:UNUSED_PAD src0_sel:WORD_1 src1_sel:DWORD
	v_fmac_f16_e32 v64, v45, v65
	v_mul_f16_sdwa v65, v45, v65 dst_sel:DWORD dst_unused:UNUSED_PAD src0_sel:WORD_1 src1_sel:DWORD
	v_fma_f16 v65, v45, v49, -v65
	s_waitcnt lgkmcnt(0)
	v_lshrrev_b32_e32 v49, 16, v67
	v_mul_f16_sdwa v45, v46, v67 dst_sel:DWORD dst_unused:UNUSED_PAD src0_sel:WORD_1 src1_sel:DWORD
	v_fma_f16 v45, v46, v49, -v45
	v_mul_f16_sdwa v49, v46, v49 dst_sel:DWORD dst_unused:UNUSED_PAD src0_sel:WORD_1 src1_sel:DWORD
	v_fmac_f16_e32 v49, v46, v67
	v_lshrrev_b32_e32 v67, 16, v66
	v_mul_f16_sdwa v46, v42, v67 dst_sel:DWORD dst_unused:UNUSED_PAD src0_sel:WORD_1 src1_sel:DWORD
	v_fmac_f16_e32 v46, v42, v66
	v_mul_f16_sdwa v66, v42, v66 dst_sel:DWORD dst_unused:UNUSED_PAD src0_sel:WORD_1 src1_sel:DWORD
	v_fma_f16 v66, v42, v67, -v66
	v_lshrrev_b32_e32 v42, 16, v70
	v_mul_f16_sdwa v67, v41, v70 dst_sel:DWORD dst_unused:UNUSED_PAD src0_sel:WORD_1 src1_sel:DWORD
	v_fma_f16 v67, v41, v42, -v67
	v_mul_f16_sdwa v42, v41, v42 dst_sel:DWORD dst_unused:UNUSED_PAD src0_sel:WORD_1 src1_sel:DWORD
	v_fmac_f16_e32 v42, v41, v70
	ds_read2_b32 v[70:71], v103 offset0:106 offset1:169
	v_lshrrev_b32_e32 v41, 16, v69
	v_mul_f16_sdwa v68, v39, v41 dst_sel:DWORD dst_unused:UNUSED_PAD src0_sel:WORD_1 src1_sel:DWORD
	v_fmac_f16_e32 v68, v39, v69
	v_mul_f16_sdwa v69, v39, v69 dst_sel:DWORD dst_unused:UNUSED_PAD src0_sel:WORD_1 src1_sel:DWORD
	v_fma_f16 v69, v39, v41, -v69
	s_waitcnt lgkmcnt(0)
	v_lshrrev_b32_e32 v41, 16, v71
	v_mul_f16_sdwa v39, v40, v71 dst_sel:DWORD dst_unused:UNUSED_PAD src0_sel:WORD_1 src1_sel:DWORD
	v_fma_f16 v39, v40, v41, -v39
	v_mul_f16_sdwa v41, v40, v41 dst_sel:DWORD dst_unused:UNUSED_PAD src0_sel:WORD_1 src1_sel:DWORD
	v_fmac_f16_e32 v41, v40, v71
	v_lshrrev_b32_e32 v40, 16, v70
	v_mul_f16_sdwa v72, v38, v40 dst_sel:DWORD dst_unused:UNUSED_PAD src0_sel:WORD_1 src1_sel:DWORD
	v_fmac_f16_e32 v72, v38, v70
	v_mul_f16_sdwa v70, v38, v70 dst_sel:DWORD dst_unused:UNUSED_PAD src0_sel:WORD_1 src1_sel:DWORD
	v_fma_f16 v40, v38, v40, -v70
	ds_read2_b32 v[70:71], v108 offset0:116 offset1:179
	s_waitcnt lgkmcnt(0)
	v_lshrrev_b32_e32 v38, 16, v71
	v_mul_f16_sdwa v73, v37, v71 dst_sel:DWORD dst_unused:UNUSED_PAD src0_sel:WORD_1 src1_sel:DWORD
	v_mul_f16_sdwa v74, v37, v38 dst_sel:DWORD dst_unused:UNUSED_PAD src0_sel:WORD_1 src1_sel:DWORD
	v_fma_f16 v73, v37, v38, -v73
	v_mul_f16_sdwa v38, v33, v70 dst_sel:DWORD dst_unused:UNUSED_PAD src0_sel:WORD_1 src1_sel:DWORD
	v_fmac_f16_e32 v74, v37, v71
	v_lshrrev_b32_e32 v37, 16, v70
	v_mul_f16_sdwa v71, v33, v37 dst_sel:DWORD dst_unused:UNUSED_PAD src0_sel:WORD_1 src1_sel:DWORD
	v_fmac_f16_e32 v71, v33, v70
	v_fma_f16 v70, v33, v37, -v38
	ds_read2_b32 v[37:38], v101 offset0:108 offset1:171
	s_waitcnt lgkmcnt(0)
	v_lshrrev_b32_e32 v33, 16, v38
	v_mul_f16_sdwa v75, v34, v38 dst_sel:DWORD dst_unused:UNUSED_PAD src0_sel:WORD_1 src1_sel:DWORD
	v_mul_f16_sdwa v76, v34, v33 dst_sel:DWORD dst_unused:UNUSED_PAD src0_sel:WORD_1 src1_sel:DWORD
	v_fma_f16 v75, v34, v33, -v75
	v_lshrrev_b32_e32 v33, 16, v37
	v_fmac_f16_e32 v76, v34, v38
	v_mul_f16_sdwa v34, v28, v37 dst_sel:DWORD dst_unused:UNUSED_PAD src0_sel:WORD_1 src1_sel:DWORD
	v_mul_f16_sdwa v77, v28, v33 dst_sel:DWORD dst_unused:UNUSED_PAD src0_sel:WORD_1 src1_sel:DWORD
	v_fma_f16 v78, v28, v33, -v34
	ds_read2_b32 v[33:34], v102 offset0:118 offset1:181
	v_fmac_f16_e32 v77, v28, v37
	s_waitcnt lgkmcnt(0)
	v_lshrrev_b32_e32 v28, 16, v34
	v_mul_f16_sdwa v37, v27, v34 dst_sel:DWORD dst_unused:UNUSED_PAD src0_sel:WORD_1 src1_sel:DWORD
	v_mul_f16_sdwa v80, v27, v28 dst_sel:DWORD dst_unused:UNUSED_PAD src0_sel:WORD_1 src1_sel:DWORD
	v_fma_f16 v79, v27, v28, -v37
	v_mul_f16_sdwa v28, v23, v33 dst_sel:DWORD dst_unused:UNUSED_PAD src0_sel:WORD_1 src1_sel:DWORD
	v_fmac_f16_e32 v80, v27, v34
	v_lshrrev_b32_e32 v27, 16, v33
	v_mul_f16_sdwa v81, v23, v27 dst_sel:DWORD dst_unused:UNUSED_PAD src0_sel:WORD_1 src1_sel:DWORD
	v_fma_f16 v82, v23, v27, -v28
	ds_read2_b32 v[27:28], v98 offset0:110 offset1:173
	v_fmac_f16_e32 v81, v23, v33
	s_waitcnt lgkmcnt(0)
	v_lshrrev_b32_e32 v23, 16, v28
	v_mul_f16_sdwa v33, v24, v28 dst_sel:DWORD dst_unused:UNUSED_PAD src0_sel:WORD_1 src1_sel:DWORD
	v_mul_f16_sdwa v84, v24, v23 dst_sel:DWORD dst_unused:UNUSED_PAD src0_sel:WORD_1 src1_sel:DWORD
	v_fma_f16 v83, v24, v23, -v33
	v_lshrrev_b32_e32 v23, 16, v27
	v_fmac_f16_e32 v84, v24, v28
	v_mul_f16_sdwa v24, v20, v27 dst_sel:DWORD dst_unused:UNUSED_PAD src0_sel:WORD_1 src1_sel:DWORD
	v_mul_f16_sdwa v28, v20, v23 dst_sel:DWORD dst_unused:UNUSED_PAD src0_sel:WORD_1 src1_sel:DWORD
	v_fmac_f16_e32 v28, v20, v27
	v_fma_f16 v27, v20, v23, -v24
	ds_read2_b32 v[23:24], v105 offset0:120 offset1:183
	s_waitcnt lgkmcnt(0)
	v_lshrrev_b32_e32 v20, 16, v24
	v_mul_f16_sdwa v33, v19, v24 dst_sel:DWORD dst_unused:UNUSED_PAD src0_sel:WORD_1 src1_sel:DWORD
	v_mul_f16_sdwa v34, v19, v20 dst_sel:DWORD dst_unused:UNUSED_PAD src0_sel:WORD_1 src1_sel:DWORD
	v_fma_f16 v33, v19, v20, -v33
	v_fmac_f16_e32 v34, v19, v24
	ds_read2_b32 v[19:20], v125 offset1:63
	v_add_f16_e32 v38, v33, v27
	v_sub_f16_e32 v85, v33, v27
	v_sub_f16_e32 v86, v34, v28
	s_waitcnt lgkmcnt(0)
	v_lshrrev_b32_e32 v24, 16, v19
	v_add_f16_e32 v37, v24, v33
	v_add_f16_e32 v33, v19, v34
	v_fmac_f16_e32 v24, -0.5, v38
	v_add_f16_e32 v27, v37, v27
	v_add_f16_e32 v37, v34, v28
	;; [unrolled: 1-line block ×3, first 2 shown]
	v_fmamk_f16 v28, v86, 0x3aee, v24
	v_fmac_f16_e32 v24, 0xbaee, v86
	v_fma_f16 v19, -0.5, v37, v19
	v_pack_b32_f16 v87, v33, v27
	v_fmamk_f16 v27, v85, 0xbaee, v19
	v_fmac_f16_e32 v19, 0x3aee, v85
	v_add_f16_e32 v85, v20, v81
	v_pack_b32_f16 v88, v27, v28
	v_pack_b32_f16 v19, v19, v24
	ds_read2_b32 v[27:28], v125 offset0:126 offset1:189
	ds_read2_b32 v[33:34], v107 offset0:124 offset1:187
	;; [unrolled: 1-line block ×3, first 2 shown]
	s_waitcnt lgkmcnt(0)
	s_barrier
	buffer_gl0_inv
	ds_write_b32 v160, v19 offset:216
	v_add_f16_e32 v19, v81, v84
	v_lshrrev_b32_e32 v24, 16, v20
	ds_write2_b32 v160, v87, v88 offset1:27
	v_fmac_f16_e32 v20, -0.5, v19
	v_sub_f16_e32 v19, v82, v83
	v_fmamk_f16 v86, v19, 0xbaee, v20
	v_fmac_f16_e32 v20, 0x3aee, v19
	v_add_f16_e32 v19, v82, v83
	v_add_f16_e32 v82, v24, v82
	v_fmac_f16_e32 v24, -0.5, v19
	v_sub_f16_e32 v19, v81, v84
	v_fmamk_f16 v81, v19, 0x3aee, v24
	v_fmac_f16_e32 v24, 0xbaee, v19
	v_pack_b32_f16 v19, v20, v24
	v_add_f16_e32 v20, v85, v84
	v_add_f16_e32 v24, v82, v83
	v_pack_b32_f16 v20, v20, v24
	v_pack_b32_f16 v24, v86, v81
	ds_write2_b32 v158, v20, v24 offset1:27
	ds_write_b32 v158, v19 offset:216
	v_lshrrev_b32_e32 v19, 16, v27
	v_add_f16_e32 v24, v79, v78
	v_add_f16_e32 v20, v19, v79
	v_fmac_f16_e32 v19, -0.5, v24
	v_add_f16_e32 v24, v27, v80
	v_sub_f16_e32 v79, v79, v78
	v_add_f16_e32 v20, v20, v78
	v_add_f16_e32 v78, v80, v77
	v_add_f16_e32 v24, v24, v77
	v_sub_f16_e32 v77, v80, v77
	v_pack_b32_f16 v20, v24, v20
	v_fma_f16 v24, -0.5, v78, v27
	v_fmamk_f16 v78, v77, 0x3aee, v19
	v_fmac_f16_e32 v19, 0xbaee, v77
	v_fmamk_f16 v27, v79, 0xbaee, v24
	v_fmac_f16_e32 v24, 0x3aee, v79
	v_pack_b32_f16 v27, v27, v78
	v_pack_b32_f16 v19, v24, v19
	v_add_f16_e32 v24, v28, v71
	ds_write2_b32 v157, v20, v27 offset1:27
	ds_write_b32 v157, v19 offset:216
	v_add_f16_e32 v19, v71, v76
	v_lshrrev_b32_e32 v20, 16, v28
	v_fmac_f16_e32 v28, -0.5, v19
	v_sub_f16_e32 v19, v70, v75
	v_fmamk_f16 v27, v19, 0xbaee, v28
	v_fmac_f16_e32 v28, 0x3aee, v19
	v_add_f16_e32 v19, v70, v75
	v_add_f16_e32 v70, v20, v70
	v_fmac_f16_e32 v20, -0.5, v19
	v_sub_f16_e32 v19, v71, v76
	v_fmamk_f16 v71, v19, 0x3aee, v20
	v_fmac_f16_e32 v20, 0xbaee, v19
	v_pack_b32_f16 v19, v28, v20
	v_add_f16_e32 v20, v24, v76
	v_add_f16_e32 v24, v70, v75
	;; [unrolled: 1-line block ×3, first 2 shown]
	v_pack_b32_f16 v20, v20, v24
	v_pack_b32_f16 v24, v27, v71
	ds_write2_b32 v156, v20, v24 offset1:27
	ds_write_b32 v156, v19 offset:216
	v_lshrrev_b32_e32 v19, 16, v33
	v_add_f16_e32 v24, v73, v40
	v_sub_f16_e32 v27, v73, v40
	v_add_f16_e32 v20, v19, v73
	v_fmac_f16_e32 v19, -0.5, v24
	v_add_f16_e32 v24, v33, v74
	v_add_f16_e32 v20, v20, v40
	v_sub_f16_e32 v40, v74, v72
	v_add_f16_e32 v24, v24, v72
	v_pack_b32_f16 v20, v24, v20
	v_fma_f16 v24, -0.5, v28, v33
	v_fmamk_f16 v33, v40, 0x3aee, v19
	v_fmac_f16_e32 v19, 0xbaee, v40
	v_fmamk_f16 v28, v27, 0xbaee, v24
	v_fmac_f16_e32 v24, 0x3aee, v27
	v_pack_b32_f16 v28, v28, v33
	v_pack_b32_f16 v19, v24, v19
	v_add_f16_e32 v24, v34, v68
	ds_write2_b32 v155, v20, v28 offset1:27
	ds_write_b32 v155, v19 offset:216
	v_add_f16_e32 v19, v68, v41
	v_lshrrev_b32_e32 v20, 16, v34
	v_fmac_f16_e32 v34, -0.5, v19
	v_sub_f16_e32 v19, v69, v39
	v_add_f16_e32 v28, v20, v69
	v_fmamk_f16 v27, v19, 0xbaee, v34
	v_fmac_f16_e32 v34, 0x3aee, v19
	v_add_f16_e32 v19, v69, v39
	v_fmac_f16_e32 v20, -0.5, v19
	v_sub_f16_e32 v19, v68, v41
	v_fmamk_f16 v33, v19, 0x3aee, v20
	v_fmac_f16_e32 v20, 0xbaee, v19
	v_pack_b32_f16 v19, v34, v20
	v_add_f16_e32 v20, v24, v41
	v_add_f16_e32 v24, v28, v39
	;; [unrolled: 1-line block ×3, first 2 shown]
	v_pack_b32_f16 v20, v20, v24
	v_pack_b32_f16 v24, v27, v33
	ds_write2_b32 v163, v20, v24 offset1:27
	ds_write_b32 v163, v19 offset:216
	v_lshrrev_b32_e32 v19, 16, v37
	v_add_f16_e32 v24, v67, v66
	v_sub_f16_e32 v27, v67, v66
	v_sub_f16_e32 v33, v42, v46
	v_fma_f16 v28, -0.5, v28, v37
	v_add_f16_e32 v20, v19, v67
	v_fmac_f16_e32 v19, -0.5, v24
	v_add_f16_e32 v24, v37, v42
	v_add_f16_e32 v20, v20, v66
	v_fmamk_f16 v34, v33, 0x3aee, v19
	v_add_f16_e32 v24, v24, v46
	v_fmac_f16_e32 v19, 0xbaee, v33
	v_pack_b32_f16 v20, v24, v20
	v_fmamk_f16 v24, v27, 0xbaee, v28
	v_fmac_f16_e32 v28, 0x3aee, v27
	v_add_f16_e32 v27, v62, v61
	v_pack_b32_f16 v24, v24, v34
	v_add_f16_e32 v34, v38, v64
	v_pack_b32_f16 v19, v28, v19
	ds_write2_b32 v162, v20, v24 offset1:27
	v_add_f16_e32 v20, v64, v49
	v_lshrrev_b32_e32 v24, 16, v38
	v_fmac_f16_e32 v38, -0.5, v20
	v_sub_f16_e32 v20, v65, v45
	v_add_f16_e32 v39, v24, v65
	v_fmamk_f16 v37, v20, 0xbaee, v38
	v_fmac_f16_e32 v38, 0x3aee, v20
	v_add_f16_e32 v20, v65, v45
	v_add_f16_e32 v33, v39, v45
	;; [unrolled: 1-line block ×3, first 2 shown]
	v_fmac_f16_e32 v24, -0.5, v20
	v_sub_f16_e32 v20, v64, v49
	v_add_f16_e32 v39, v39, v61
	v_fmamk_f16 v40, v20, 0x3aee, v24
	v_fmac_f16_e32 v24, 0xbaee, v20
	v_pack_b32_f16 v28, v37, v40
	v_pack_b32_f16 v20, v38, v24
	v_add_f16_e32 v24, v34, v49
	v_lshrrev_b32_e32 v34, 16, v23
	v_add_f16_e32 v38, v63, v50
	v_fmac_f16_e32 v23, -0.5, v27
	v_sub_f16_e32 v27, v63, v50
	v_pack_b32_f16 v24, v24, v33
	v_add_f16_e32 v41, v34, v63
	v_fmac_f16_e32 v34, -0.5, v38
	v_sub_f16_e32 v38, v62, v61
	v_fmamk_f16 v42, v27, 0xbaee, v23
	v_fmac_f16_e32 v23, 0x3aee, v27
	v_add_f16_e32 v27, v41, v50
	v_fmamk_f16 v41, v38, 0x3aee, v34
	v_fmac_f16_e32 v34, 0xbaee, v38
	v_pack_b32_f16 v27, v39, v27
	v_pack_b32_f16 v33, v42, v41
	;; [unrolled: 1-line block ×3, first 2 shown]
	ds_write_b32 v162, v19 offset:216
	ds_write2_b32 v165, v24, v28 offset1:27
	ds_write_b32 v165, v20 offset:216
	ds_write2_b32 v168, v27, v33 offset1:27
	ds_write_b32 v168, v23 offset:216
	s_waitcnt lgkmcnt(0)
	s_barrier
	buffer_gl0_inv
	ds_read2_b32 v[19:20], v106 offset0:112 offset1:175
	ds_read_b32 v23, v125 offset:6552
	ds_read2_b32 v[41:42], v109 offset0:104 offset1:167
	ds_read2_b32 v[49:50], v104 offset0:114 offset1:177
	s_waitcnt lgkmcnt(3)
	v_lshrrev_b32_e32 v28, 16, v19
	v_lshrrev_b32_e32 v34, 16, v20
	v_mul_f16_sdwa v38, v59, v20 dst_sel:DWORD dst_unused:UNUSED_PAD src0_sel:WORD_1 src1_sel:DWORD
	s_waitcnt lgkmcnt(2)
	v_lshrrev_b32_e32 v37, 16, v23
	v_mul_f16_sdwa v40, v57, v19 dst_sel:DWORD dst_unused:UNUSED_PAD src0_sel:WORD_1 src1_sel:DWORD
	v_mul_f16_sdwa v24, v57, v28 dst_sel:DWORD dst_unused:UNUSED_PAD src0_sel:WORD_1 src1_sel:DWORD
	;; [unrolled: 1-line block ×4, first 2 shown]
	v_fma_f16 v34, v59, v34, -v38
	s_waitcnt lgkmcnt(1)
	v_lshrrev_b32_e32 v38, 16, v42
	v_fmac_f16_e32 v24, v57, v19
	v_fmac_f16_e32 v27, v59, v20
	ds_read2_b32 v[19:20], v103 offset0:106 offset1:169
	v_mul_f16_sdwa v33, v60, v37 dst_sel:DWORD dst_unused:UNUSED_PAD src0_sel:WORD_1 src1_sel:DWORD
	v_mul_f16_sdwa v46, v58, v42 dst_sel:DWORD dst_unused:UNUSED_PAD src0_sel:WORD_1 src1_sel:DWORD
	v_fma_f16 v37, v60, v37, -v39
	v_mul_f16_sdwa v39, v58, v38 dst_sel:DWORD dst_unused:UNUSED_PAD src0_sel:WORD_1 src1_sel:DWORD
	v_lshrrev_b32_e32 v45, 16, v41
	v_fma_f16 v40, v57, v28, -v40
	v_fma_f16 v38, v58, v38, -v46
	s_waitcnt lgkmcnt(1)
	v_lshrrev_b32_e32 v28, 16, v50
	v_fmac_f16_e32 v39, v58, v42
	ds_read2_b32 v[57:58], v108 offset0:116 offset1:179
	v_fmac_f16_e32 v33, v60, v23
	v_mul_f16_sdwa v23, v56, v45 dst_sel:DWORD dst_unused:UNUSED_PAD src0_sel:WORD_1 src1_sel:DWORD
	v_mul_f16_sdwa v46, v55, v50 dst_sel:DWORD dst_unused:UNUSED_PAD src0_sel:WORD_1 src1_sel:DWORD
	;; [unrolled: 1-line block ×4, first 2 shown]
	v_lshrrev_b32_e32 v61, 16, v49
	v_fmac_f16_e32 v23, v56, v41
	v_fma_f16 v28, v55, v28, -v46
	v_fma_f16 v41, v56, v45, -v59
	v_fmac_f16_e32 v42, v55, v50
	s_waitcnt lgkmcnt(1)
	v_lshrrev_b32_e32 v55, 16, v20
	ds_read2_b32 v[59:60], v101 offset0:108 offset1:171
	v_mul_f16_sdwa v50, v53, v49 dst_sel:DWORD dst_unused:UNUSED_PAD src0_sel:WORD_1 src1_sel:DWORD
	v_mul_f16_sdwa v45, v53, v61 dst_sel:DWORD dst_unused:UNUSED_PAD src0_sel:WORD_1 src1_sel:DWORD
	;; [unrolled: 1-line block ×4, first 2 shown]
	v_lshrrev_b32_e32 v63, 16, v19
	v_fma_f16 v50, v53, v61, -v50
	ds_read2_b32 v[61:62], v102 offset0:118 offset1:181
	v_fmac_f16_e32 v45, v53, v49
	v_fmac_f16_e32 v46, v54, v20
	s_waitcnt lgkmcnt(2)
	v_lshrrev_b32_e32 v20, 16, v58
	v_fma_f16 v49, v54, v55, -v56
	v_mul_f16_sdwa v53, v52, v63 dst_sel:DWORD dst_unused:UNUSED_PAD src0_sel:WORD_1 src1_sel:DWORD
	v_mul_f16_sdwa v55, v51, v58 dst_sel:DWORD dst_unused:UNUSED_PAD src0_sel:WORD_1 src1_sel:DWORD
	v_lshrrev_b32_e32 v64, 16, v57
	v_mul_f16_sdwa v54, v51, v20 dst_sel:DWORD dst_unused:UNUSED_PAD src0_sel:WORD_1 src1_sel:DWORD
	v_mul_f16_sdwa v56, v52, v19 dst_sel:DWORD dst_unused:UNUSED_PAD src0_sel:WORD_1 src1_sel:DWORD
	v_fmac_f16_e32 v53, v52, v19
	v_fma_f16 v55, v51, v20, -v55
	v_mul_f16_sdwa v65, v47, v64 dst_sel:DWORD dst_unused:UNUSED_PAD src0_sel:WORD_1 src1_sel:DWORD
	v_fmac_f16_e32 v54, v51, v58
	s_waitcnt lgkmcnt(1)
	v_lshrrev_b32_e32 v19, 16, v60
	v_mul_f16_sdwa v51, v48, v60 dst_sel:DWORD dst_unused:UNUSED_PAD src0_sel:WORD_1 src1_sel:DWORD
	v_fma_f16 v52, v52, v63, -v56
	v_fmac_f16_e32 v65, v47, v57
	v_mul_f16_sdwa v20, v47, v57 dst_sel:DWORD dst_unused:UNUSED_PAD src0_sel:WORD_1 src1_sel:DWORD
	v_lshrrev_b32_e32 v58, 16, v59
	v_mul_f16_sdwa v63, v48, v19 dst_sel:DWORD dst_unused:UNUSED_PAD src0_sel:WORD_1 src1_sel:DWORD
	ds_read2_b32 v[56:57], v98 offset0:110 offset1:173
	v_fma_f16 v51, v48, v19, -v51
	v_mul_f16_sdwa v19, v44, v59 dst_sel:DWORD dst_unused:UNUSED_PAD src0_sel:WORD_1 src1_sel:DWORD
	v_fma_f16 v47, v47, v64, -v20
	v_mul_f16_sdwa v64, v44, v58 dst_sel:DWORD dst_unused:UNUSED_PAD src0_sel:WORD_1 src1_sel:DWORD
	s_waitcnt lgkmcnt(1)
	v_lshrrev_b32_e32 v20, 16, v62
	v_fmac_f16_e32 v63, v48, v60
	v_fma_f16 v58, v44, v58, -v19
	v_mul_f16_sdwa v19, v43, v62 dst_sel:DWORD dst_unused:UNUSED_PAD src0_sel:WORD_1 src1_sel:DWORD
	v_fmac_f16_e32 v64, v44, v59
	v_mul_f16_sdwa v59, v43, v20 dst_sel:DWORD dst_unused:UNUSED_PAD src0_sel:WORD_1 src1_sel:DWORD
	v_lshrrev_b32_e32 v48, 16, v61
	v_fma_f16 v66, v43, v20, -v19
	ds_read2_b32 v[19:20], v105 offset0:120 offset1:183
	v_fmac_f16_e32 v59, v43, v62
	v_mul_f16_sdwa v60, v25, v48 dst_sel:DWORD dst_unused:UNUSED_PAD src0_sel:WORD_1 src1_sel:DWORD
	v_mul_f16_sdwa v43, v25, v61 dst_sel:DWORD dst_unused:UNUSED_PAD src0_sel:WORD_1 src1_sel:DWORD
	s_waitcnt lgkmcnt(1)
	v_lshrrev_b32_e32 v44, 16, v57
	v_fmac_f16_e32 v60, v25, v61
	v_mul_f16_sdwa v61, v26, v57 dst_sel:DWORD dst_unused:UNUSED_PAD src0_sel:WORD_1 src1_sel:DWORD
	v_fma_f16 v48, v25, v48, -v43
	v_lshrrev_b32_e32 v25, 16, v56
	v_mul_f16_sdwa v62, v26, v44 dst_sel:DWORD dst_unused:UNUSED_PAD src0_sel:WORD_1 src1_sel:DWORD
	v_mul_f16_sdwa v43, v22, v56 dst_sel:DWORD dst_unused:UNUSED_PAD src0_sel:WORD_1 src1_sel:DWORD
	v_fma_f16 v61, v26, v44, -v61
	v_fmac_f16_e32 v62, v26, v57
	v_mul_f16_sdwa v26, v22, v25 dst_sel:DWORD dst_unused:UNUSED_PAD src0_sel:WORD_1 src1_sel:DWORD
	v_fma_f16 v25, v22, v25, -v43
	s_waitcnt lgkmcnt(0)
	v_lshrrev_b32_e32 v44, 16, v20
	v_fmac_f16_e32 v26, v22, v56
	v_mul_f16_sdwa v22, v21, v20 dst_sel:DWORD dst_unused:UNUSED_PAD src0_sel:WORD_1 src1_sel:DWORD
	v_mul_f16_sdwa v43, v21, v44 dst_sel:DWORD dst_unused:UNUSED_PAD src0_sel:WORD_1 src1_sel:DWORD
	v_fma_f16 v44, v21, v44, -v22
	v_fmac_f16_e32 v43, v21, v20
	ds_read2_b32 v[21:22], v125 offset1:63
	v_add_f16_e32 v57, v44, v25
	v_sub_f16_e32 v67, v44, v25
	s_waitcnt lgkmcnt(0)
	v_lshrrev_b32_e32 v56, 16, v21
	v_add_f16_e32 v71, v22, v60
	v_add_f16_e32 v20, v56, v44
	;; [unrolled: 1-line block ×3, first 2 shown]
	v_fmac_f16_e32 v56, -0.5, v57
	v_sub_f16_e32 v57, v43, v26
	v_add_f16_e32 v20, v20, v25
	v_add_f16_e32 v25, v21, v43
	v_fma_f16 v69, -0.5, v44, v21
	v_fmamk_f16 v21, v57, 0x3aee, v56
	v_fmac_f16_e32 v56, 0xbaee, v57
	v_add_f16_e32 v57, v71, v62
	v_add_f16_e32 v25, v25, v26
	v_pack_b32_f16 v68, v25, v20
	v_fmamk_f16 v20, v67, 0xbaee, v69
	v_fmac_f16_e32 v69, 0x3aee, v67
	v_pack_b32_f16 v70, v20, v21
	ds_read2_b32 v[25:26], v107 offset0:124 offset1:187
	ds_read2_b32 v[43:44], v125 offset0:126 offset1:189
	;; [unrolled: 1-line block ×3, first 2 shown]
	s_waitcnt lgkmcnt(0)
	s_barrier
	buffer_gl0_inv
	ds_write2_b32 v125, v68, v70 offset1:81
	v_add_f16_e32 v68, v60, v62
	v_lshrrev_b32_e32 v70, 16, v22
	v_sub_f16_e32 v60, v60, v62
	v_add_f16_e32 v62, v66, v58
	v_pack_b32_f16 v56, v69, v56
	v_fmac_f16_e32 v22, -0.5, v68
	v_sub_f16_e32 v68, v48, v61
	v_fmamk_f16 v72, v68, 0xbaee, v22
	v_fmac_f16_e32 v22, 0x3aee, v68
	v_add_f16_e32 v68, v48, v61
	v_add_f16_e32 v48, v70, v48
	v_fmac_f16_e32 v70, -0.5, v68
	v_add_f16_e32 v48, v48, v61
	v_fmamk_f16 v68, v60, 0x3aee, v70
	v_pack_b32_f16 v48, v57, v48
	v_lshrrev_b32_e32 v57, 16, v43
	v_fmac_f16_e32 v70, 0xbaee, v60
	v_pack_b32_f16 v60, v72, v68
	v_add_f16_e32 v61, v57, v66
	v_sub_f16_e32 v66, v66, v58
	v_fmac_f16_e32 v57, -0.5, v62
	v_add_f16_e32 v62, v59, v64
	v_pack_b32_f16 v22, v22, v70
	v_add_f16_e32 v58, v61, v58
	v_add_f16_e32 v61, v43, v59
	v_sub_f16_e32 v59, v59, v64
	v_fma_f16 v43, -0.5, v62, v43
	v_add_f16_e32 v61, v61, v64
	v_fmamk_f16 v62, v59, 0x3aee, v57
	v_fmac_f16_e32 v57, 0xbaee, v59
	v_pack_b32_f16 v58, v61, v58
	v_fmamk_f16 v61, v66, 0xbaee, v43
	v_fmac_f16_e32 v43, 0x3aee, v66
	v_pack_b32_f16 v61, v61, v62
	ds_write_b32 v125, v56 offset:648
	ds_write2_b32 v164, v48, v60 offset1:81
	ds_write_b32 v164, v22 offset:648
	ds_write2_b32 v161, v58, v61 offset1:81
	v_add_f16_e32 v22, v65, v63
	v_lshrrev_b32_e32 v48, 16, v44
	v_add_f16_e32 v56, v47, v51
	v_add_f16_e32 v58, v44, v65
	;; [unrolled: 1-line block ×3, first 2 shown]
	v_fmac_f16_e32 v44, -0.5, v22
	v_sub_f16_e32 v22, v47, v51
	v_add_f16_e32 v47, v48, v47
	v_fmac_f16_e32 v48, -0.5, v56
	v_sub_f16_e32 v56, v65, v63
	v_add_f16_e32 v61, v25, v54
	v_fmamk_f16 v59, v22, 0xbaee, v44
	v_fmac_f16_e32 v44, 0x3aee, v22
	v_add_f16_e32 v22, v47, v51
	v_lshrrev_b32_e32 v51, 16, v25
	v_add_f16_e32 v58, v58, v63
	v_fmamk_f16 v47, v56, 0x3aee, v48
	v_fmac_f16_e32 v48, 0xbaee, v56
	v_add_f16_e32 v56, v55, v52
	v_add_f16_e32 v62, v51, v55
	v_fma_f16 v60, -0.5, v60, v25
	v_sub_f16_e32 v25, v55, v52
	v_add_f16_e32 v61, v61, v53
	v_sub_f16_e32 v53, v54, v53
	v_add_f16_e32 v54, v45, v46
	v_add_f16_e32 v52, v62, v52
	v_lshrrev_b32_e32 v62, 16, v26
	v_pack_b32_f16 v43, v43, v57
	v_fmamk_f16 v63, v25, 0xbaee, v60
	v_fmac_f16_e32 v60, 0x3aee, v25
	v_add_f16_e32 v25, v26, v45
	v_fmac_f16_e32 v26, -0.5, v54
	v_sub_f16_e32 v54, v50, v49
	v_add_f16_e32 v55, v50, v49
	v_add_f16_e32 v50, v62, v50
	v_pack_b32_f16 v22, v58, v22
	v_pack_b32_f16 v47, v59, v47
	ds_write_b32 v161, v43 offset:648
	v_fmac_f16_e32 v62, -0.5, v55
	v_add_f16_e32 v65, v25, v46
	v_sub_f16_e32 v25, v45, v46
	v_add_f16_e32 v45, v50, v49
	v_add_f16_e32 v50, v42, v23
	ds_write2_b32 v159, v22, v47 offset1:81
	v_add_f16_e32 v22, v20, v42
	v_lshrrev_b32_e32 v46, 16, v20
	v_fmamk_f16 v49, v25, 0x3aee, v62
	v_fmac_f16_e32 v62, 0xbaee, v25
	v_add_f16_e32 v25, v28, v41
	v_fma_f16 v47, -0.5, v50, v20
	v_sub_f16_e32 v20, v28, v41
	v_add_f16_e32 v58, v22, v23
	v_sub_f16_e32 v22, v42, v23
	v_add_f16_e32 v23, v24, v39
	v_add_f16_e32 v50, v46, v28
	v_fmac_f16_e32 v46, -0.5, v25
	v_lshrrev_b32_e32 v28, 16, v21
	v_fmamk_f16 v42, v20, 0xbaee, v47
	v_fmac_f16_e32 v47, 0x3aee, v20
	v_add_f16_e32 v20, v21, v24
	v_fmac_f16_e32 v21, -0.5, v23
	v_sub_f16_e32 v25, v40, v38
	v_add_f16_e32 v41, v50, v41
	v_fmamk_f16 v50, v22, 0x3aee, v46
	v_fmac_f16_e32 v46, 0xbaee, v22
	v_add_f16_e32 v22, v20, v39
	v_add_f16_e32 v20, v40, v38
	v_fmamk_f16 v23, v25, 0xbaee, v21
	v_fmac_f16_e32 v21, 0x3aee, v25
	v_add_f16_e32 v25, v28, v40
	v_add_f16_e32 v40, v27, v33
	v_fmac_f16_e32 v51, -0.5, v56
	v_fmamk_f16 v64, v54, 0xbaee, v26
	v_fmac_f16_e32 v26, 0x3aee, v54
	v_fmac_f16_e32 v28, -0.5, v20
	v_lshrrev_b32_e32 v54, 16, v19
	v_sub_f16_e32 v20, v24, v39
	v_add_f16_e32 v24, v19, v27
	v_fmac_f16_e32 v19, -0.5, v40
	v_add_f16_e32 v40, v34, v37
	v_fmamk_f16 v43, v53, 0x3aee, v51
	v_sub_f16_e32 v39, v34, v37
	v_add_f16_e32 v34, v54, v34
	v_sub_f16_e32 v27, v27, v33
	v_fmac_f16_e32 v54, -0.5, v40
	v_fmac_f16_e32 v51, 0xbaee, v53
	v_pack_b32_f16 v44, v44, v48
	v_add_f16_e32 v53, v25, v38
	v_add_f16_e32 v25, v24, v33
	v_fmamk_f16 v55, v27, 0x3aee, v54
	v_fmac_f16_e32 v54, 0xbaee, v27
	v_pack_b32_f16 v24, v61, v52
	v_pack_b32_f16 v27, v63, v43
	v_add_nc_u32_e32 v33, 0xa00, v166
	v_fmamk_f16 v56, v20, 0x3aee, v28
	v_add_f16_e32 v57, v34, v37
	v_pack_b32_f16 v34, v60, v51
	v_fmac_f16_e32 v28, 0xbaee, v20
	v_pack_b32_f16 v37, v65, v45
	v_pack_b32_f16 v38, v64, v49
	v_fmamk_f16 v20, v39, 0xbaee, v19
	v_pack_b32_f16 v26, v26, v62
	v_fmac_f16_e32 v19, 0x3aee, v39
	v_pack_b32_f16 v39, v58, v41
	v_pack_b32_f16 v40, v42, v50
	ds_write_b32 v159, v44 offset:648
	ds_write2_b32 v33, v24, v27 offset0:89 offset1:170
	ds_write_b32 v166, v34 offset:3564
	ds_write2_b32 v167, v37, v38 offset1:81
	ds_write_b32 v167, v26 offset:648
	ds_write2_b32 v169, v39, v40 offset1:81
	v_pack_b32_f16 v24, v47, v46
	v_pack_b32_f16 v26, v22, v53
	;; [unrolled: 1-line block ×6, first 2 shown]
	v_add_nc_u32_e32 v38, 0x1600, v171
	v_pack_b32_f16 v39, v19, v54
	ds_write_b32 v169, v24 offset:648
	ds_write2_b32 v170, v26, v27 offset1:81
	ds_write_b32 v170, v33 offset:648
	ds_write2_b32 v38, v34, v37 offset0:50 offset1:131
	ds_write_b32 v171, v39 offset:6480
	s_waitcnt lgkmcnt(0)
	s_barrier
	buffer_gl0_inv
	ds_read2_b32 v[33:34], v125 offset1:63
	ds_read2_b32 v[26:27], v125 offset0:126 offset1:243
	ds_read2_b32 v[51:52], v105 offset0:102 offset1:165
	;; [unrolled: 1-line block ×9, first 2 shown]
	ds_read_b32 v58, v125 offset:6336
	s_and_saveexec_b32 s0, vcc_lo
	s_cbranch_execz .LBB0_7
; %bb.6:
	v_add_nc_u32_e32 v19, 0x2e0, v125
	v_add_nc_u32_e32 v24, 0xa80, v125
	ds_read2_b32 v[20:21], v101 offset0:9 offset1:252
	ds_read_b32 v99, v125 offset:6588
	ds_read2_b32 v[22:23], v19 offset0:5 offset1:248
	ds_read2_b32 v[24:25], v24 offset0:3 offset1:246
	s_waitcnt lgkmcnt(3)
	v_lshrrev_b32_e32 v55, 16, v20
	v_lshrrev_b32_e32 v54, 16, v21
	s_waitcnt lgkmcnt(2)
	v_lshrrev_b32_e32 v100, 16, v99
	v_mov_b32_e32 v19, v21
	s_waitcnt lgkmcnt(1)
	v_lshrrev_b32_e32 v53, 16, v22
	v_lshrrev_b32_e32 v56, 16, v23
	s_waitcnt lgkmcnt(0)
	v_lshrrev_b32_e32 v28, 16, v24
	v_lshrrev_b32_e32 v57, 16, v25
	v_mov_b32_e32 v21, v24
.LBB0_7:
	s_or_b32 exec_lo, exec_lo, s0
	s_waitcnt lgkmcnt(9)
	v_lshrrev_b32_e32 v24, 16, v27
	s_waitcnt lgkmcnt(8)
	v_lshrrev_b32_e32 v59, 16, v51
	;; [unrolled: 2-line block ×5, first 2 shown]
	v_mul_f16_sdwa v72, v8, v24 dst_sel:DWORD dst_unused:UNUSED_PAD src0_sel:WORD_1 src1_sel:DWORD
	s_waitcnt lgkmcnt(4)
	v_lshrrev_b32_e32 v63, 16, v45
	v_mul_f16_sdwa v77, v9, v59 dst_sel:DWORD dst_unused:UNUSED_PAD src0_sel:WORD_1 src1_sel:DWORD
	v_mul_f16_sdwa v78, v9, v51 dst_sel:DWORD dst_unused:UNUSED_PAD src0_sel:WORD_1 src1_sel:DWORD
	;; [unrolled: 1-line block ×3, first 2 shown]
	v_fmac_f16_e32 v72, v8, v27
	v_mul_f16_sdwa v27, v8, v27 dst_sel:DWORD dst_unused:UNUSED_PAD src0_sel:WORD_1 src1_sel:DWORD
	s_waitcnt lgkmcnt(3)
	v_lshrrev_b32_e32 v64, 16, v47
	v_lshrrev_b32_e32 v65, 16, v52
	v_mul_f16_sdwa v80, v10, v38 dst_sel:DWORD dst_unused:UNUSED_PAD src0_sel:WORD_1 src1_sel:DWORD
	v_fmac_f16_e32 v77, v9, v51
	v_fma_f16 v8, v8, v24, -v27
	v_fma_f16 v9, v9, v59, -v78
	v_fmac_f16_e32 v79, v10, v38
	v_mul_f16_sdwa v24, v11, v61 dst_sel:DWORD dst_unused:UNUSED_PAD src0_sel:WORD_1 src1_sel:DWORD
	v_mul_f16_sdwa v27, v11, v49 dst_sel:DWORD dst_unused:UNUSED_PAD src0_sel:WORD_1 src1_sel:DWORD
	v_mul_f16_sdwa v38, v29, v62 dst_sel:DWORD dst_unused:UNUSED_PAD src0_sel:WORD_1 src1_sel:DWORD
	v_mul_f16_sdwa v51, v29, v40 dst_sel:DWORD dst_unused:UNUSED_PAD src0_sel:WORD_1 src1_sel:DWORD
	v_mul_f16_sdwa v59, v30, v63 dst_sel:DWORD dst_unused:UNUSED_PAD src0_sel:WORD_1 src1_sel:DWORD
	s_waitcnt lgkmcnt(2)
	v_lshrrev_b32_e32 v66, 16, v43
	v_lshrrev_b32_e32 v67, 16, v50
	s_waitcnt lgkmcnt(1)
	v_lshrrev_b32_e32 v68, 16, v41
	v_fmac_f16_e32 v24, v11, v49
	v_fma_f16 v11, v11, v61, -v27
	v_fmac_f16_e32 v38, v29, v40
	v_fma_f16 v27, v29, v62, -v51
	v_fmac_f16_e32 v59, v30, v45
	v_mul_f16_sdwa v29, v30, v45 dst_sel:DWORD dst_unused:UNUSED_PAD src0_sel:WORD_1 src1_sel:DWORD
	v_mul_f16_sdwa v40, v12, v64 dst_sel:DWORD dst_unused:UNUSED_PAD src0_sel:WORD_1 src1_sel:DWORD
	;; [unrolled: 1-line block ×5, first 2 shown]
	v_lshrrev_b32_e32 v69, 16, v46
	v_lshrrev_b32_e32 v70, 16, v48
	v_fma_f16 v29, v30, v63, -v29
	v_fmac_f16_e32 v40, v12, v47
	v_fma_f16 v12, v12, v64, -v45
	v_fmac_f16_e32 v49, v13, v52
	v_fma_f16 v13, v13, v65, -v51
	v_mul_f16_sdwa v30, v14, v66 dst_sel:DWORD dst_unused:UNUSED_PAD src0_sel:WORD_1 src1_sel:DWORD
	v_mul_f16_sdwa v45, v14, v43 dst_sel:DWORD dst_unused:UNUSED_PAD src0_sel:WORD_1 src1_sel:DWORD
	;; [unrolled: 1-line block ×5, first 2 shown]
	v_lshrrev_b32_e32 v71, 16, v37
	v_lshrrev_b32_e32 v73, 16, v44
	;; [unrolled: 1-line block ×3, first 2 shown]
	v_fmac_f16_e32 v30, v14, v43
	v_fma_f16 v14, v14, v66, -v45
	v_fmac_f16_e32 v47, v15, v50
	v_fma_f16 v15, v15, v67, -v51
	v_fmac_f16_e32 v52, v35, v41
	v_mul_f16_sdwa v41, v35, v41 dst_sel:DWORD dst_unused:UNUSED_PAD src0_sel:WORD_1 src1_sel:DWORD
	v_mul_f16_sdwa v43, v36, v69 dst_sel:DWORD dst_unused:UNUSED_PAD src0_sel:WORD_1 src1_sel:DWORD
	;; [unrolled: 1-line block ×5, first 2 shown]
	v_lshrrev_b32_e32 v75, 16, v42
	s_waitcnt lgkmcnt(0)
	v_lshrrev_b32_e32 v76, 16, v58
	v_fma_f16 v35, v35, v68, -v41
	v_fmac_f16_e32 v43, v36, v46
	v_fma_f16 v36, v36, v69, -v45
	v_fmac_f16_e32 v50, v4, v48
	v_fma_f16 v4, v4, v70, -v51
	v_mul_f16_sdwa v41, v5, v71 dst_sel:DWORD dst_unused:UNUSED_PAD src0_sel:WORD_1 src1_sel:DWORD
	v_mul_f16_sdwa v45, v5, v37 dst_sel:DWORD dst_unused:UNUSED_PAD src0_sel:WORD_1 src1_sel:DWORD
	;; [unrolled: 1-line block ×5, first 2 shown]
	v_fmac_f16_e32 v41, v5, v37
	v_fma_f16 v5, v5, v71, -v45
	v_fmac_f16_e32 v46, v6, v44
	v_fma_f16 v6, v6, v73, -v48
	v_fmac_f16_e32 v51, v7, v39
	v_mul_f16_sdwa v37, v7, v39 dst_sel:DWORD dst_unused:UNUSED_PAD src0_sel:WORD_1 src1_sel:DWORD
	v_mul_f16_sdwa v39, v31, v75 dst_sel:DWORD dst_unused:UNUSED_PAD src0_sel:WORD_1 src1_sel:DWORD
	;; [unrolled: 1-line block ×4, first 2 shown]
	v_fma_f16 v10, v10, v60, -v80
	v_mul_f16_sdwa v44, v31, v42 dst_sel:DWORD dst_unused:UNUSED_PAD src0_sel:WORD_1 src1_sel:DWORD
	v_fma_f16 v7, v7, v74, -v37
	v_fmac_f16_e32 v39, v31, v42
	v_fmac_f16_e32 v45, v32, v58
	v_fma_f16 v32, v32, v76, -v48
	v_add_f16_e32 v37, v72, v59
	v_add_f16_e32 v42, v8, v29
	v_sub_f16_e32 v8, v8, v29
	v_add_f16_e32 v29, v77, v38
	v_add_f16_e32 v48, v9, v27
	v_fma_f16 v31, v31, v75, -v44
	v_sub_f16_e32 v44, v72, v59
	v_sub_f16_e32 v38, v77, v38
	;; [unrolled: 1-line block ×3, first 2 shown]
	v_add_f16_e32 v27, v79, v24
	v_add_f16_e32 v58, v10, v11
	v_sub_f16_e32 v24, v24, v79
	v_sub_f16_e32 v10, v11, v10
	v_add_f16_e32 v11, v29, v37
	v_add_f16_e32 v59, v48, v42
	v_sub_f16_e32 v60, v29, v37
	v_sub_f16_e32 v61, v48, v42
	;; [unrolled: 1-line block ×6, first 2 shown]
	v_add_f16_e32 v62, v24, v38
	v_add_f16_e32 v63, v10, v9
	v_sub_f16_e32 v64, v24, v38
	v_sub_f16_e32 v65, v10, v9
	;; [unrolled: 1-line block ×3, first 2 shown]
	v_add_f16_e32 v11, v27, v11
	v_add_f16_e32 v27, v58, v59
	v_sub_f16_e32 v9, v9, v8
	v_sub_f16_e32 v24, v44, v24
	;; [unrolled: 1-line block ×3, first 2 shown]
	v_add_f16_e32 v44, v62, v44
	v_add_f16_e32 v8, v63, v8
	;; [unrolled: 1-line block ×3, first 2 shown]
	v_add_f16_sdwa v33, v33, v27 dst_sel:DWORD dst_unused:UNUSED_PAD src0_sel:WORD_1 src1_sel:DWORD
	v_mul_f16_e32 v37, 0x3a52, v37
	v_mul_f16_e32 v42, 0x3a52, v42
	;; [unrolled: 1-line block ×8, first 2 shown]
	v_fmamk_f16 v11, v11, 0xbcab, v58
	v_fmamk_f16 v27, v27, 0xbcab, v33
	;; [unrolled: 1-line block ×4, first 2 shown]
	v_fma_f16 v59, v60, 0x39e0, -v59
	v_fma_f16 v62, v61, 0x39e0, -v62
	;; [unrolled: 1-line block ×4, first 2 shown]
	v_fmamk_f16 v60, v24, 0xb574, v63
	v_fmamk_f16 v61, v10, 0xb574, v64
	v_fma_f16 v24, v24, 0x3574, -v65
	v_fma_f16 v10, v10, 0x3574, -v66
	;; [unrolled: 1-line block ×4, first 2 shown]
	v_add_f16_e32 v29, v29, v11
	v_add_f16_e32 v48, v48, v27
	;; [unrolled: 1-line block ×6, first 2 shown]
	v_fmac_f16_e32 v60, 0xb70e, v44
	v_fmac_f16_e32 v61, 0xb70e, v8
	;; [unrolled: 1-line block ×6, first 2 shown]
	v_add_f16_e32 v8, v61, v29
	v_sub_f16_e32 v37, v48, v60
	v_add_f16_e32 v42, v10, v11
	v_sub_f16_e32 v44, v27, v24
	v_sub_f16_e32 v10, v11, v10
	v_add_f16_e32 v11, v24, v27
	v_sub_f16_e32 v24, v29, v61
	v_add_f16_e32 v27, v60, v48
	v_add_f16_e32 v29, v40, v43
	;; [unrolled: 1-line block ×3, first 2 shown]
	v_sub_f16_e32 v40, v40, v43
	v_sub_f16_e32 v12, v12, v36
	v_add_f16_e32 v36, v49, v52
	v_add_f16_e32 v43, v13, v35
	v_sub_f16_e32 v49, v49, v52
	v_sub_f16_e32 v13, v13, v35
	v_add_f16_e32 v35, v30, v47
	v_add_f16_e32 v52, v14, v15
	;; [unrolled: 4-line block ×3, first 2 shown]
	v_sub_f16_e32 v63, v59, v9
	v_add_f16_e32 v64, v38, v62
	v_add_f16_e32 v9, v9, v59
	v_sub_f16_e32 v38, v62, v38
	v_sub_f16_e32 v59, v36, v29
	;; [unrolled: 1-line block ×7, first 2 shown]
	v_add_f16_e32 v61, v30, v49
	v_add_f16_e32 v62, v14, v13
	v_sub_f16_e32 v65, v30, v49
	v_sub_f16_e32 v66, v14, v13
	;; [unrolled: 1-line block ×3, first 2 shown]
	v_add_f16_e32 v15, v35, v15
	v_add_f16_e32 v35, v52, v47
	v_sub_f16_e32 v13, v13, v12
	v_sub_f16_e32 v30, v40, v30
	v_sub_f16_e32 v14, v12, v14
	v_add_f16_e32 v40, v61, v40
	v_add_f16_e32 v12, v62, v12
	;; [unrolled: 1-line block ×3, first 2 shown]
	v_add_f16_sdwa v34, v34, v35 dst_sel:DWORD dst_unused:UNUSED_PAD src0_sel:WORD_1 src1_sel:DWORD
	v_mul_f16_e32 v29, 0x3a52, v29
	v_mul_f16_e32 v48, 0x3a52, v48
	;; [unrolled: 1-line block ×8, first 2 shown]
	v_fmamk_f16 v15, v15, 0xbcab, v47
	v_fmamk_f16 v35, v35, 0xbcab, v34
	;; [unrolled: 1-line block ×4, first 2 shown]
	v_fma_f16 v52, v59, 0x39e0, -v52
	v_fma_f16 v61, v60, 0x39e0, -v61
	;; [unrolled: 1-line block ×4, first 2 shown]
	v_fmamk_f16 v59, v30, 0xb574, v62
	v_fmamk_f16 v60, v14, 0xb574, v65
	v_fma_f16 v30, v30, 0x3574, -v66
	v_fma_f16 v14, v14, 0x3574, -v67
	;; [unrolled: 1-line block ×4, first 2 shown]
	v_add_f16_e32 v36, v36, v15
	v_add_f16_e32 v43, v43, v35
	;; [unrolled: 1-line block ×5, first 2 shown]
	v_fmac_f16_e32 v59, 0xb70e, v40
	v_fmac_f16_e32 v60, 0xb70e, v12
	;; [unrolled: 1-line block ×4, first 2 shown]
	v_add_f16_e32 v61, v61, v35
	v_fmac_f16_e32 v49, 0xb70e, v40
	v_fmac_f16_e32 v13, 0xb70e, v12
	v_add_f16_e32 v12, v60, v36
	v_sub_f16_e32 v35, v43, v59
	v_add_f16_e32 v40, v14, v15
	v_sub_f16_e32 v48, v29, v30
	v_sub_f16_e32 v14, v15, v14
	v_add_f16_e32 v15, v30, v29
	v_sub_f16_e32 v29, v36, v60
	v_add_f16_e32 v30, v59, v43
	v_add_f16_e32 v36, v50, v45
	;; [unrolled: 1-line block ×3, first 2 shown]
	v_sub_f16_e32 v45, v50, v45
	v_sub_f16_e32 v4, v4, v32
	v_add_f16_e32 v32, v41, v39
	v_add_f16_e32 v50, v5, v31
	v_sub_f16_e32 v39, v41, v39
	v_sub_f16_e32 v5, v5, v31
	v_add_f16_e32 v31, v46, v51
	v_add_f16_e32 v41, v6, v7
	;; [unrolled: 4-line block ×3, first 2 shown]
	v_sub_f16_e32 v62, v52, v13
	v_add_f16_e32 v65, v49, v61
	v_add_f16_e32 v13, v13, v52
	v_sub_f16_e32 v49, v61, v49
	v_sub_f16_e32 v52, v32, v36
	;; [unrolled: 1-line block ×7, first 2 shown]
	v_add_f16_e32 v60, v46, v39
	v_add_f16_e32 v61, v6, v5
	v_sub_f16_e32 v66, v46, v39
	v_sub_f16_e32 v67, v6, v5
	v_add_f16_e32 v7, v31, v7
	v_add_f16_e32 v31, v41, v51
	v_sub_f16_e32 v39, v39, v45
	v_sub_f16_e32 v5, v5, v4
	v_sub_f16_e32 v46, v45, v46
	v_sub_f16_e32 v6, v4, v6
	v_add_f16_e32 v41, v60, v45
	v_add_f16_e32 v4, v61, v4
	;; [unrolled: 1-line block ×3, first 2 shown]
	v_add_f16_sdwa v26, v26, v31 dst_sel:DWORD dst_unused:UNUSED_PAD src0_sel:WORD_1 src1_sel:DWORD
	v_mul_f16_e32 v36, 0x3a52, v36
	v_mul_f16_e32 v43, 0x3a52, v43
	v_mul_f16_e32 v51, 0x2b26, v32
	v_mul_f16_e32 v60, 0x2b26, v50
	v_mul_f16_e32 v61, 0x3846, v66
	v_mul_f16_e32 v66, 0x3846, v67
	v_mul_f16_e32 v67, 0xbb00, v39
	v_mul_f16_e32 v68, 0xbb00, v5
	v_pack_b32_f16 v8, v8, v37
	v_pack_b32_f16 v37, v42, v44
	v_fmamk_f16 v7, v7, 0xbcab, v45
	v_fmamk_f16 v31, v31, 0xbcab, v26
	;; [unrolled: 1-line block ×4, first 2 shown]
	v_fma_f16 v51, v52, 0x39e0, -v51
	v_fma_f16 v60, v59, 0x39e0, -v60
	;; [unrolled: 1-line block ×4, first 2 shown]
	v_fmamk_f16 v52, v46, 0xb574, v61
	v_fmamk_f16 v59, v6, 0xb574, v66
	v_fma_f16 v46, v46, 0x3574, -v67
	v_fma_f16 v6, v6, 0x3574, -v68
	v_pack_b32_f16 v42, v63, v64
	ds_write_b32 v125, v8 offset:972
	ds_write_b32 v125, v37 offset:1944
	v_pack_b32_f16 v8, v10, v11
	v_fma_f16 v39, v39, 0xbb00, -v61
	v_fma_f16 v5, v5, 0xbb00, -v66
	v_pack_b32_f16 v9, v9, v38
	v_add_f16_e32 v32, v32, v7
	v_add_f16_e32 v50, v50, v31
	v_fmac_f16_e32 v52, 0xb70e, v41
	v_fmac_f16_e32 v59, 0xb70e, v4
	v_add_f16_e32 v51, v51, v7
	v_add_f16_e32 v60, v60, v31
	;; [unrolled: 1-line block ×4, first 2 shown]
	v_fmac_f16_e32 v6, 0xb70e, v4
	v_fmac_f16_e32 v46, 0xb70e, v41
	ds_write_b32 v125, v42 offset:2916
	ds_write_b32 v125, v9 offset:3888
	v_pack_b32_f16 v9, v24, v27
	ds_write_b32 v125, v8 offset:4860
	v_pack_b32_f16 v8, v40, v48
	v_fmac_f16_e32 v39, 0xb70e, v41
	v_fmac_f16_e32 v5, 0xb70e, v4
	v_pack_b32_f16 v33, v58, v33
	v_pack_b32_f16 v10, v47, v34
	;; [unrolled: 1-line block ×3, first 2 shown]
	v_add_f16_e32 v4, v59, v32
	v_sub_f16_e32 v36, v50, v52
	v_add_f16_e32 v41, v6, v7
	v_sub_f16_e32 v43, v31, v46
	ds_write_b32 v125, v9 offset:5832
	ds_write2_b32 v125, v33, v10 offset1:63
	ds_write_b32 v125, v8 offset:2196
	ds_write_b32 v125, v11 offset:3168
	v_pack_b32_f16 v8, v13, v49
	v_sub_f16_e32 v61, v51, v5
	v_add_f16_e32 v66, v39, v60
	v_pack_b32_f16 v10, v14, v15
	v_add_f16_e32 v5, v5, v51
	v_sub_f16_e32 v39, v60, v39
	v_pack_b32_f16 v11, v29, v30
	v_sub_f16_e32 v6, v7, v6
	v_add_f16_e32 v7, v46, v31
	v_pack_b32_f16 v9, v12, v35
	v_pack_b32_f16 v12, v45, v26
	v_sub_f16_e32 v31, v32, v59
	v_add_f16_e32 v32, v52, v50
	v_pack_b32_f16 v4, v4, v36
	ds_write_b32 v125, v8 offset:4140
	ds_write_b32 v125, v10 offset:5112
	;; [unrolled: 1-line block ×4, first 2 shown]
	ds_write2_b32 v97, v9, v4 offset0:50 offset1:113
	v_pack_b32_f16 v4, v41, v43
	v_pack_b32_f16 v8, v61, v66
	;; [unrolled: 1-line block ×5, first 2 shown]
	ds_write_b32 v125, v4 offset:2448
	ds_write_b32 v125, v8 offset:3420
	;; [unrolled: 1-line block ×5, first 2 shown]
	s_and_saveexec_b32 s0, vcc_lo
	s_cbranch_execz .LBB0_9
; %bb.8:
	v_mul_f16_sdwa v7, v1, v28 dst_sel:DWORD dst_unused:UNUSED_PAD src0_sel:WORD_1 src1_sel:DWORD
	v_mul_f16_sdwa v8, v17, v54 dst_sel:DWORD dst_unused:UNUSED_PAD src0_sel:WORD_1 src1_sel:DWORD
	;; [unrolled: 1-line block ×5, first 2 shown]
	v_fmac_f16_e32 v7, v1, v21
	v_fmac_f16_e32 v8, v17, v19
	v_mul_f16_sdwa v15, v0, v23 dst_sel:DWORD dst_unused:UNUSED_PAD src0_sel:WORD_1 src1_sel:DWORD
	v_mul_f16_sdwa v19, v17, v19 dst_sel:DWORD dst_unused:UNUSED_PAD src0_sel:WORD_1 src1_sel:DWORD
	;; [unrolled: 1-line block ×5, first 2 shown]
	v_fmac_f16_e32 v5, v3, v20
	v_fmac_f16_e32 v4, v0, v23
	v_fma_f16 v12, v18, v100, -v12
	v_fma_f16 v0, v0, v56, -v15
	v_mul_f16_sdwa v15, v2, v25 dst_sel:DWORD dst_unused:UNUSED_PAD src0_sel:WORD_1 src1_sel:DWORD
	v_mul_f16_sdwa v20, v3, v20 dst_sel:DWORD dst_unused:UNUSED_PAD src0_sel:WORD_1 src1_sel:DWORD
	v_fma_f16 v17, v17, v54, -v19
	v_fma_f16 v1, v1, v28, -v21
	v_fmac_f16_e32 v6, v2, v25
	v_fmac_f16_e32 v9, v18, v99
	v_add_f16_e32 v19, v12, v0
	v_fma_f16 v2, v2, v57, -v15
	v_fma_f16 v3, v3, v55, -v20
	v_add_f16_e32 v15, v17, v1
	v_sub_f16_e32 v11, v7, v8
	v_sub_f16_e32 v13, v4, v9
	v_add_f16_e32 v4, v9, v4
	v_add_f16_e32 v21, v2, v3
	;; [unrolled: 1-line block ×4, first 2 shown]
	v_sub_f16_e32 v10, v5, v6
	v_add_f16_e32 v5, v6, v5
	v_sub_f16_e32 v24, v19, v21
	v_add_f16_e32 v23, v21, v23
	v_sub_f16_e32 v8, v21, v15
	v_add_f16_e32 v21, v7, v4
	v_sub_f16_e32 v25, v4, v5
	v_sub_f16_e32 v2, v3, v2
	v_sub_f16_e32 v1, v1, v17
	v_sub_f16_e32 v0, v0, v12
	v_add_f16_e32 v21, v5, v21
	v_sub_f16_e32 v14, v10, v11
	v_mul_f16_e32 v3, 0x3a52, v25
	v_sub_f16_e32 v5, v5, v7
	v_sub_f16_e32 v12, v2, v1
	v_add_f16_e32 v17, v22, v21
	v_sub_f16_e32 v18, v13, v10
	v_add_f16_e32 v10, v10, v11
	v_mul_f16_e32 v9, 0x3a52, v24
	v_sub_f16_e32 v25, v0, v2
	v_sub_f16_e32 v11, v11, v13
	v_add_f16_e32 v2, v2, v1
	v_sub_f16_e32 v15, v15, v19
	v_sub_f16_e32 v1, v1, v0
	v_mul_f16_e32 v14, 0x3846, v14
	v_add_f16_e32 v6, v53, v23
	v_mul_f16_e32 v24, 0x2b26, v8
	v_fmamk_f16 v22, v5, 0x2b26, v3
	v_fmamk_f16 v21, v21, 0xbcab, v17
	v_mul_f16_e32 v12, 0x3846, v12
	v_fmamk_f16 v8, v8, 0x2b26, v9
	v_mul_f16_e32 v5, 0x2b26, v5
	v_mul_f16_e32 v27, 0xbb00, v11
	v_sub_f16_e32 v4, v7, v4
	v_fma_f16 v7, v15, 0xb9e0, -v9
	v_mul_f16_e32 v9, 0xbb00, v1
	v_fmamk_f16 v20, v18, 0xb574, v14
	v_add_f16_e32 v10, v10, v13
	v_fmamk_f16 v23, v23, 0xbcab, v6
	v_add_f16_e32 v13, v22, v21
	;; [unrolled: 2-line block ×3, first 2 shown]
	v_fma_f16 v15, v15, 0x39e0, -v24
	v_fma_f16 v11, v11, 0xbb00, -v14
	;; [unrolled: 1-line block ×7, first 2 shown]
	v_fmac_f16_e32 v20, 0xb70e, v10
	v_add_f16_e32 v8, v8, v23
	v_fmac_f16_e32 v22, 0xb70e, v0
	v_add_f16_e32 v5, v15, v23
	v_fmac_f16_e32 v11, 0xb70e, v10
	v_fmac_f16_e32 v2, 0xb70e, v10
	v_add_f16_e32 v7, v7, v23
	v_add_f16_e32 v3, v3, v21
	v_fmac_f16_e32 v9, 0xb70e, v0
	v_fmac_f16_e32 v1, 0xb70e, v0
	v_add_f16_e32 v0, v4, v21
	v_add_f16_e32 v26, v20, v8
	v_sub_f16_e32 v14, v5, v11
	v_add_f16_e32 v5, v11, v5
	v_sub_f16_e32 v8, v8, v20
	v_add_f16_e32 v11, v22, v13
	v_add_f16_e32 v10, v2, v7
	v_sub_f16_e32 v12, v3, v9
	v_add_f16_e32 v15, v1, v0
	v_sub_f16_e32 v2, v7, v2
	;; [unrolled: 2-line block ×3, first 2 shown]
	v_sub_f16_e32 v4, v13, v22
	v_pack_b32_f16 v1, v17, v6
	v_pack_b32_f16 v6, v11, v8
	v_add_nc_u32_e32 v7, 0x2e0, v125
	v_pack_b32_f16 v2, v3, v2
	v_pack_b32_f16 v0, v0, v5
	v_add_nc_u32_e32 v3, 0xa80, v125
	;; [unrolled: 3-line block ×3, first 2 shown]
	v_pack_b32_f16 v4, v4, v26
	ds_write2_b32 v7, v1, v6 offset0:5 offset1:248
	ds_write2_b32 v3, v2, v0 offset0:3 offset1:246
	;; [unrolled: 1-line block ×3, first 2 shown]
	ds_write_b32 v125, v4 offset:6588
.LBB0_9:
	s_or_b32 exec_lo, exec_lo, s0
	s_waitcnt lgkmcnt(0)
	s_barrier
	buffer_gl0_inv
	ds_read2_b32 v[4:5], v125 offset1:63
	v_add_nc_u32_e32 v0, 0x600, v125
	v_add_nc_u32_e32 v2, 0x1000, v125
	ds_read2_b32 v[0:1], v0 offset0:120 offset1:183
	ds_read2_b32 v[2:3], v2 offset0:110 offset1:173
	s_mov_b32 s6, 0x9c850ab
	s_mov_b32 s7, 0x3f434393
	v_mad_u64_u32 v[12:13], null, s10, v16, 0
	s_waitcnt lgkmcnt(2)
	v_lshrrev_b32_e32 v6, 16, v4
	v_mul_f16_sdwa v7, v152, v4 dst_sel:DWORD dst_unused:UNUSED_PAD src0_sel:WORD_1 src1_sel:DWORD
	v_mul_f16_sdwa v8, v152, v6 dst_sel:DWORD dst_unused:UNUSED_PAD src0_sel:WORD_1 src1_sel:DWORD
	v_fma_f16 v6, v152, v6, -v7
	s_waitcnt lgkmcnt(1)
	v_lshrrev_b32_e32 v9, 16, v1
	v_mul_f16_sdwa v10, v153, v1 dst_sel:DWORD dst_unused:UNUSED_PAD src0_sel:WORD_1 src1_sel:DWORD
	s_waitcnt lgkmcnt(0)
	v_lshrrev_b32_e32 v23, 16, v2
	v_fmac_f16_e32 v8, v152, v4
	v_cvt_f32_f16_e32 v4, v6
	v_mul_f16_sdwa v14, v153, v9 dst_sel:DWORD dst_unused:UNUSED_PAD src0_sel:WORD_1 src1_sel:DWORD
	v_mul_f16_sdwa v15, v150, v23 dst_sel:DWORD dst_unused:UNUSED_PAD src0_sel:WORD_1 src1_sel:DWORD
	v_cvt_f32_f16_e32 v8, v8
	v_cvt_f64_f32_e32 v[6:7], v4
	v_fma_f16 v4, v153, v9, -v10
	v_fmac_f16_e32 v14, v153, v1
	v_fmac_f16_e32 v15, v150, v2
	v_cvt_f64_f32_e32 v[8:9], v8
	v_cvt_f32_f16_e32 v4, v4
	v_cvt_f32_f16_e32 v1, v14
	v_cvt_f64_f32_e32 v[10:11], v4
	v_cvt_f64_f32_e32 v[17:18], v1
	v_cvt_f32_f16_e32 v4, v15
	v_mad_u64_u32 v[14:15], null, s8, v151, 0
	v_mov_b32_e32 v1, v13
	v_cvt_f64_f32_e32 v[19:20], v4
	v_mul_f64 v[6:7], v[6:7], s[6:7]
	v_mov_b32_e32 v4, v15
	v_mad_u64_u32 v[15:16], null, s11, v16, v[1:2]
	v_mul_f64 v[8:9], v[8:9], s[6:7]
	v_mad_u64_u32 v[21:22], null, s9, v151, v[4:5]
	v_mul_f16_sdwa v4, v150, v2 dst_sel:DWORD dst_unused:UNUSED_PAD src0_sel:WORD_1 src1_sel:DWORD
	v_mov_b32_e32 v13, v15
	v_mul_f64 v[10:11], v[10:11], s[6:7]
	v_fma_f16 v4, v150, v23, -v4
	v_mov_b32_e32 v15, v21
	v_lshlrev_b64 v[1:2], 2, v[12:13]
	v_mul_f64 v[12:13], v[17:18], s[6:7]
	v_mul_f64 v[16:17], v[19:20], s[6:7]
	v_cvt_f32_f16_e32 v4, v4
	v_and_or_b32 v6, 0x1ff, v7, v6
	v_lshrrev_b32_e32 v18, 8, v7
	v_bfe_u32 v19, v7, 20, 11
	v_lshrrev_b32_e32 v7, 16, v7
	v_and_or_b32 v8, 0x1ff, v9, v8
	v_cmp_ne_u32_e32 vcc_lo, 0, v6
	v_lshrrev_b32_e32 v20, 8, v9
	v_bfe_u32 v21, v9, 20, 11
	v_sub_nc_u32_e32 v22, 0x3f1, v19
	v_add_nc_u32_e32 v19, 0xfffffc10, v19
	v_cndmask_b32_e64 v6, 0, 1, vcc_lo
	v_and_or_b32 v10, 0x1ff, v11, v10
	v_cmp_ne_u32_e32 vcc_lo, 0, v8
	v_bfe_u32 v25, v11, 20, 11
	v_lshrrev_b32_e32 v24, 8, v11
	v_sub_nc_u32_e32 v26, 0x3f1, v21
	v_and_or_b32 v6, 0xffe, v18, v6
	v_cndmask_b32_e64 v8, 0, 1, vcc_lo
	v_cmp_ne_u32_e32 vcc_lo, 0, v10
	v_sub_nc_u32_e32 v28, 0x3f1, v25
	v_and_or_b32 v12, 0x1ff, v13, v12
	v_med3_i32 v18, v22, 0, 13
	v_and_or_b32 v8, 0xffe, v20, v8
	v_cndmask_b32_e64 v10, 0, 1, vcc_lo
	v_med3_i32 v20, v26, 0, 13
	v_cmp_ne_u32_e32 vcc_lo, 0, v6
	v_or_b32_e32 v26, 0x1000, v6
	v_lshl_or_b32 v29, v19, 12, v6
	v_and_or_b32 v10, 0xffe, v24, v10
	v_med3_i32 v24, v28, 0, 13
	v_or_b32_e32 v28, 0x1000, v8
	v_cndmask_b32_e64 v6, 0, 1, vcc_lo
	v_cmp_ne_u32_e32 vcc_lo, 0, v12
	v_add_nc_u32_e32 v21, 0xfffffc10, v21
	v_lshrrev_b32_e32 v32, v18, v26
	v_lshrrev_b32_e32 v33, v20, v28
	;; [unrolled: 1-line block ×3, first 2 shown]
	v_cndmask_b32_e64 v12, 0, 1, vcc_lo
	v_cmp_ne_u32_e32 vcc_lo, 0, v8
	v_bfe_u32 v27, v13, 20, 11
	v_lshlrev_b32_e32 v20, v20, v33
	v_lshl_or_b32 v31, v21, 12, v8
	v_lshlrev_b32_e32 v18, v18, v32
	v_cndmask_b32_e64 v8, 0, 1, vcc_lo
	v_sub_nc_u32_e32 v30, 0x3f1, v27
	v_cmp_ne_u32_e32 vcc_lo, v20, v28
	v_and_or_b32 v12, 0xffe, v22, v12
	v_add_nc_u32_e32 v27, 0xfffffc10, v27
	v_lshl_or_b32 v8, v8, 9, 0x7c00
	v_med3_i32 v22, v30, 0, 13
	v_cndmask_b32_e64 v20, 0, 1, vcc_lo
	v_cmp_ne_u32_e32 vcc_lo, v18, v26
	v_or_b32_e32 v35, 0x1000, v12
	v_or_b32_e32 v30, 0x1000, v10
	v_lshl_or_b32 v28, v27, 12, v12
	v_or_b32_e32 v20, v33, v20
	v_cndmask_b32_e64 v18, 0, 1, vcc_lo
	v_cmp_gt_i32_e32 vcc_lo, 1, v21
	v_lshrrev_b32_e32 v26, v22, v35
	v_lshrrev_b32_e32 v33, v24, v30
	v_cmp_gt_i32_e64 s3, 1, v27
	v_or_b32_e32 v18, v32, v18
	v_cndmask_b32_e32 v20, v31, v20, vcc_lo
	v_cmp_gt_i32_e32 vcc_lo, 1, v19
	v_lshlrev_b32_e32 v22, v22, v26
	v_lshlrev_b32_e32 v24, v24, v33
	v_lshl_or_b32 v6, v6, 9, 0x7c00
	v_lshrrev_b32_e32 v9, 16, v9
	v_cndmask_b32_e32 v18, v29, v18, vcc_lo
	v_cmp_ne_u32_e32 vcc_lo, v22, v35
	v_and_b32_e32 v29, 7, v20
	v_lshrrev_b32_e32 v20, 2, v20
	v_add_nc_u32_e32 v25, 0xfffffc10, v25
	v_and_b32_e32 v31, 7, v18
	v_cndmask_b32_e64 v22, 0, 1, vcc_lo
	v_cmp_lt_i32_e32 vcc_lo, 5, v29
	v_cmp_eq_u32_e64 s0, 3, v29
	v_lshrrev_b32_e32 v18, 2, v18
	v_cmp_lt_i32_e64 s1, 5, v31
	v_cmp_eq_u32_e64 s2, 3, v31
	v_or_b32_e32 v22, v26, v22
	s_or_b32 vcc_lo, s0, vcc_lo
	v_lshl_or_b32 v34, v25, 12, v10
	v_add_co_ci_u32_e32 v20, vcc_lo, 0, v20, vcc_lo
	s_or_b32 vcc_lo, s2, s1
	v_cndmask_b32_e64 v22, v28, v22, s3
	v_add_co_ci_u32_e32 v18, vcc_lo, 0, v18, vcc_lo
	v_cmp_gt_i32_e32 vcc_lo, 31, v21
	s_mul_hi_u32 s2, s8, 0x8dc
	v_and_b32_e32 v26, 7, v22
	s_mul_i32 s3, s8, 0x8dc
	v_cndmask_b32_e32 v20, 0x7c00, v20, vcc_lo
	v_cmp_gt_i32_e32 vcc_lo, 31, v19
	v_cmp_eq_u32_e64 s0, 3, v26
	v_cndmask_b32_e32 v18, 0x7c00, v18, vcc_lo
	v_cmp_eq_u32_e32 vcc_lo, 0x40f, v21
	v_cndmask_b32_e32 v8, v20, v8, vcc_lo
	v_cmp_ne_u32_e32 vcc_lo, v24, v30
	v_and_or_b32 v8, 0x8000, v9, v8
	v_cndmask_b32_e64 v20, 0, 1, vcc_lo
	v_cmp_eq_u32_e32 vcc_lo, 0x40f, v19
	v_lshrrev_b32_e32 v9, 2, v22
	v_cndmask_b32_e32 v6, v18, v6, vcc_lo
	v_cmp_lt_i32_e32 vcc_lo, 5, v26
	v_and_or_b32 v6, 0x8000, v7, v6
	s_or_b32 vcc_lo, s0, vcc_lo
	v_and_b32_e32 v7, 0xffff, v8
	v_add_co_ci_u32_e32 v9, vcc_lo, 0, v9, vcc_lo
	v_cmp_ne_u32_e32 vcc_lo, 0, v12
	v_or_b32_e32 v8, v33, v20
	v_lshl_or_b32 v18, v6, 16, v7
	v_cndmask_b32_e64 v6, 0, 1, vcc_lo
	v_cmp_gt_i32_e32 vcc_lo, 1, v25
	v_lshl_or_b32 v12, v6, 9, 0x7c00
	v_cndmask_b32_e32 v8, v34, v8, vcc_lo
	v_cmp_gt_i32_e32 vcc_lo, 31, v27
	v_cvt_f64_f32_e32 v[6:7], v4
	v_and_b32_e32 v19, 7, v8
	v_cndmask_b32_e32 v9, 0x7c00, v9, vcc_lo
	v_add_co_u32 v4, vcc_lo, s4, v1
	v_add_co_ci_u32_e32 v20, vcc_lo, s5, v2, vcc_lo
	v_cmp_eq_u32_e32 vcc_lo, 0x40f, v27
	v_cmp_eq_u32_e64 s0, 3, v19
	v_lshrrev_b32_e32 v8, 2, v8
	v_lshlrev_b64 v[1:2], 2, v[14:15]
	v_bfe_u32 v14, v17, 20, 11
	v_cndmask_b32_e32 v9, v9, v12, vcc_lo
	v_cmp_lt_i32_e32 vcc_lo, 5, v19
	v_lshrrev_b32_e32 v12, 16, v13
	v_lshrrev_b32_e32 v13, 8, v17
	;; [unrolled: 1-line block ×3, first 2 shown]
	s_mul_i32 s5, s8, 0xffffef44
	s_or_b32 vcc_lo, s0, vcc_lo
	v_and_or_b32 v9, 0x8000, v12, v9
	v_add_co_ci_u32_e32 v8, vcc_lo, 0, v8, vcc_lo
	v_and_or_b32 v12, 0x1ff, v17, v16
	v_cmp_ne_u32_e32 vcc_lo, 0, v10
	v_mul_f64 v[6:7], v[6:7], s[6:7]
	v_mul_f16_sdwa v16, v149, v15 dst_sel:DWORD dst_unused:UNUSED_PAD src0_sel:WORD_1 src1_sel:DWORD
	s_mul_i32 s0, s9, 0x8dc
	v_cndmask_b32_e64 v10, 0, 1, vcc_lo
	v_cmp_ne_u32_e32 vcc_lo, 0, v12
	v_fmac_f16_e32 v16, v149, v5
	v_mul_f16_sdwa v5, v149, v5 dst_sel:DWORD dst_unused:UNUSED_PAD src0_sel:WORD_1 src1_sel:DWORD
	s_add_i32 s2, s2, s0
	v_lshl_or_b32 v10, v10, 9, 0x7c00
	v_cndmask_b32_e64 v12, 0, 1, vcc_lo
	v_cmp_gt_i32_e32 vcc_lo, 31, v25
	v_fma_f16 v5, v149, v15, -v5
	v_and_or_b32 v12, 0xffe, v13, v12
	v_cndmask_b32_e32 v8, 0x7c00, v8, vcc_lo
	v_sub_nc_u32_e32 v13, 0x3f1, v14
	v_cmp_eq_u32_e32 vcc_lo, 0x40f, v25
	v_add_nc_u32_e32 v14, 0xfffffc10, v14
	v_med3_i32 v13, v13, 0, 13
	v_cndmask_b32_e32 v8, v8, v10, vcc_lo
	v_lshrrev_b32_e32 v10, 16, v11
	v_or_b32_e32 v11, 0x1000, v12
	v_add_co_u32 v1, vcc_lo, v4, v1
	v_add_co_ci_u32_e32 v2, vcc_lo, v20, v2, vcc_lo
	v_and_or_b32 v4, 0x8000, v10, v8
	v_and_b32_e32 v8, 0xffff, v9
	v_lshrrev_b32_e32 v10, v13, v11
	v_and_or_b32 v6, 0x1ff, v7, v6
	global_store_dword v[1:2], v18, off
	v_lshl_or_b32 v18, v4, 16, v8
	v_lshlrev_b32_e32 v4, v13, v10
	v_cvt_f32_f16_e32 v8, v16
	v_cmp_ne_u32_e32 vcc_lo, 0, v6
	v_lshrrev_b32_e32 v13, 8, v7
	v_bfe_u32 v16, v7, 20, 11
	v_cvt_f64_f32_e32 v[8:9], v8
	v_cndmask_b32_e64 v6, 0, 1, vcc_lo
	v_cmp_ne_u32_e32 vcc_lo, v4, v11
	v_sub_nc_u32_e32 v11, 0x3f1, v16
	v_and_or_b32 v6, 0xffe, v13, v6
	v_cndmask_b32_e64 v4, 0, 1, vcc_lo
	v_cmp_gt_i32_e32 vcc_lo, 1, v14
	v_med3_i32 v11, v11, 0, 13
	v_or_b32_e32 v13, 0x1000, v6
	v_or_b32_e32 v4, v10, v4
	v_lshl_or_b32 v10, v14, 12, v12
	v_lshrrev_b32_e32 v19, v11, v13
	v_cndmask_b32_e32 v15, v10, v4, vcc_lo
	v_cvt_f32_f16_e32 v10, v5
	v_lshlrev_b32_e32 v21, v11, v19
	v_mul_f64 v[4:5], v[8:9], s[6:7]
	v_and_b32_e32 v20, 7, v15
	v_cvt_f64_f32_e32 v[8:9], v10
	v_add_co_u32 v10, vcc_lo, v1, s3
	v_add_co_ci_u32_e32 v11, vcc_lo, s2, v2, vcc_lo
	v_cmp_lt_i32_e32 vcc_lo, 5, v20
	v_cmp_eq_u32_e64 s0, 3, v20
	v_lshrrev_b32_e32 v1, 2, v15
	v_cmp_ne_u32_e64 s1, v21, v13
	v_add_nc_u32_e32 v13, 0xfffffc10, v16
	v_add_nc_u32_e32 v16, 0x800, v125
	s_or_b32 vcc_lo, s0, vcc_lo
	global_store_dword v[10:11], v18, off
	v_add_co_ci_u32_e32 v1, vcc_lo, 0, v1, vcc_lo
	v_cmp_ne_u32_e32 vcc_lo, 0, v12
	v_cndmask_b32_e64 v2, 0, 1, s1
	v_lshl_or_b32 v15, v13, 12, v6
	v_add_co_u32 v10, s1, v10, s3
	v_cndmask_b32_e64 v12, 0, 1, vcc_lo
	v_cmp_gt_i32_e32 vcc_lo, 31, v14
	v_or_b32_e32 v2, v19, v2
	v_mul_f64 v[8:9], v[8:9], s[6:7]
	v_add_co_ci_u32_e64 v11, s1, s2, v11, s1
	v_cndmask_b32_e32 v1, 0x7c00, v1, vcc_lo
	v_cmp_gt_i32_e32 vcc_lo, 1, v13
	v_lshl_or_b32 v12, v12, 9, 0x7c00
	v_cndmask_b32_e32 v15, v15, v2, vcc_lo
	v_and_or_b32 v2, 0x1ff, v5, v4
	v_cmp_eq_u32_e32 vcc_lo, 0x40f, v14
	v_bfe_u32 v14, v5, 20, 11
	v_cndmask_b32_e32 v4, v1, v12, vcc_lo
	v_cmp_ne_u32_e32 vcc_lo, 0, v2
	v_and_b32_e32 v1, 7, v15
	v_lshrrev_b32_e32 v12, 8, v5
	v_lshrrev_b32_e32 v15, 2, v15
	v_sub_nc_u32_e32 v19, 0x3f1, v14
	v_cndmask_b32_e64 v2, 0, 1, vcc_lo
	v_cmp_lt_i32_e32 vcc_lo, 5, v1
	v_cmp_eq_u32_e64 s0, 3, v1
	v_and_or_b32 v8, 0x1ff, v9, v8
	v_med3_i32 v19, v19, 0, 13
	v_and_or_b32 v12, 0xffe, v12, v2
	ds_read2_b32 v[1:2], v16 offset0:118 offset1:181
	s_or_b32 vcc_lo, s0, vcc_lo
	v_lshrrev_b32_e32 v16, 16, v17
	v_add_co_ci_u32_e32 v15, vcc_lo, 0, v15, vcc_lo
	v_or_b32_e32 v17, 0x1000, v12
	v_cmp_gt_i32_e32 vcc_lo, 31, v13
	v_and_or_b32 v4, 0x8000, v16, v4
	v_lshrrev_b32_e32 v20, 8, v9
	v_bfe_u32 v21, v9, 20, 11
	v_lshrrev_b32_e32 v16, v19, v17
	v_cndmask_b32_e32 v15, 0x7c00, v15, vcc_lo
	v_cmp_ne_u32_e32 vcc_lo, 0, v6
	v_add_nc_u32_e32 v14, 0xfffffc10, v14
	v_add_nc_u32_e32 v18, 0xfffffc10, v21
	v_lshlrev_b32_e32 v19, v19, v16
	v_and_b32_e32 v4, 0xffff, v4
	v_cndmask_b32_e64 v6, 0, 1, vcc_lo
	v_cmp_ne_u32_e32 vcc_lo, 0, v8
	v_cmp_eq_u32_e64 s1, 0x40f, v14
	s_waitcnt lgkmcnt(0)
	v_lshrrev_b32_e32 v22, 16, v1
	v_lshrrev_b32_e32 v5, 16, v5
	v_lshl_or_b32 v6, v6, 9, 0x7c00
	v_cndmask_b32_e64 v8, 0, 1, vcc_lo
	v_cmp_ne_u32_e32 vcc_lo, v19, v17
	v_mul_f16_sdwa v19, v148, v22 dst_sel:DWORD dst_unused:UNUSED_PAD src0_sel:WORD_1 src1_sel:DWORD
	v_lshrrev_b32_e32 v9, 16, v9
	v_and_or_b32 v8, 0xffe, v20, v8
	v_cndmask_b32_e64 v17, 0, 1, vcc_lo
	v_sub_nc_u32_e32 v20, 0x3f1, v21
	v_fmac_f16_e32 v19, v148, v1
	v_cmp_gt_i32_e32 vcc_lo, 1, v14
	v_or_b32_e32 v23, 0x1000, v8
	v_or_b32_e32 v16, v16, v17
	v_lshl_or_b32 v17, v14, 12, v12
	v_med3_i32 v20, v20, 0, 13
	v_mul_f16_sdwa v1, v148, v1 dst_sel:DWORD dst_unused:UNUSED_PAD src0_sel:WORD_1 src1_sel:DWORD
	v_cndmask_b32_e32 v16, v17, v16, vcc_lo
	v_cvt_f32_f16_e32 v17, v19
	v_lshrrev_b32_e32 v19, v20, v23
	v_cmp_eq_u32_e32 vcc_lo, 0x40f, v13
	v_fma_f16 v1, v148, v22, -v1
	v_lshlrev_b32_e32 v20, v20, v19
	v_cndmask_b32_e32 v13, v15, v6, vcc_lo
	v_lshrrev_b32_e32 v15, 16, v7
	v_cvt_f64_f32_e32 v[6:7], v17
	v_and_b32_e32 v17, 7, v16
	v_cmp_ne_u32_e64 s0, v20, v23
	v_lshrrev_b32_e32 v16, 2, v16
	v_and_or_b32 v15, 0x8000, v15, v13
	v_cvt_f32_f16_e32 v1, v1
	v_cmp_lt_i32_e32 vcc_lo, 5, v17
	v_cndmask_b32_e64 v13, 0, 1, s0
	v_cmp_eq_u32_e64 s0, 3, v17
	v_lshl_or_b32 v17, v18, 12, v8
	v_or_b32_e32 v13, v19, v13
	s_or_b32 vcc_lo, s0, vcc_lo
	v_add_co_ci_u32_e32 v16, vcc_lo, 0, v16, vcc_lo
	v_cmp_gt_i32_e32 vcc_lo, 1, v18
	v_cndmask_b32_e32 v17, v17, v13, vcc_lo
	v_cmp_ne_u32_e32 vcc_lo, 0, v12
	v_cvt_f64_f32_e32 v[12:13], v1
	v_mul_f64 v[6:7], v[6:7], s[6:7]
	v_lshl_or_b32 v1, v15, 16, v4
	v_and_b32_e32 v20, 7, v17
	v_cndmask_b32_e64 v19, 0, 1, vcc_lo
	v_cmp_gt_i32_e32 vcc_lo, 31, v14
	global_store_dword v[10:11], v1, off
	v_cmp_eq_u32_e64 s0, 3, v20
	v_lshl_or_b32 v15, v19, 9, 0x7c00
	v_cndmask_b32_e32 v4, 0x7c00, v16, vcc_lo
	v_cmp_lt_i32_e32 vcc_lo, 5, v20
	v_lshrrev_b32_e32 v16, 2, v17
	v_cndmask_b32_e64 v4, v4, v15, s1
	s_or_b32 vcc_lo, s0, vcc_lo
	s_mul_hi_u32 s1, s8, 0xffffef44
	v_add_co_ci_u32_e32 v14, vcc_lo, 0, v16, vcc_lo
	v_cmp_ne_u32_e32 vcc_lo, 0, v8
	v_and_or_b32 v4, 0x8000, v5, v4
	v_mul_f64 v[12:13], v[12:13], s[6:7]
	v_and_or_b32 v6, 0x1ff, v7, v6
	v_lshrrev_b32_e32 v15, 8, v7
	v_cndmask_b32_e64 v8, 0, 1, vcc_lo
	v_cmp_gt_i32_e32 vcc_lo, 31, v18
	v_bfe_u32 v16, v7, 20, 11
	v_and_b32_e32 v4, 0xffff, v4
	s_mul_i32 s0, s9, 0xffffef44
	v_lshl_or_b32 v8, v8, 9, 0x7c00
	v_cndmask_b32_e32 v14, 0x7c00, v14, vcc_lo
	v_cmp_ne_u32_e32 vcc_lo, 0, v6
	s_sub_i32 s4, s1, s8
	s_add_i32 s4, s4, s0
	v_cndmask_b32_e64 v6, 0, 1, vcc_lo
	v_cmp_eq_u32_e32 vcc_lo, 0x40f, v18
	v_and_or_b32 v6, 0xffe, v15, v6
	v_cndmask_b32_e32 v8, v14, v8, vcc_lo
	v_lshrrev_b32_e32 v14, 16, v3
	v_sub_nc_u32_e32 v15, 0x3f1, v16
	v_bfe_u32 v18, v13, 20, 11
	v_or_b32_e32 v17, 0x1000, v6
	v_and_or_b32 v8, 0x8000, v9, v8
	v_mul_f16_sdwa v5, v147, v14 dst_sel:DWORD dst_unused:UNUSED_PAD src0_sel:WORD_1 src1_sel:DWORD
	v_med3_i32 v15, v15, 0, 13
	v_and_or_b32 v9, 0x1ff, v13, v12
	v_add_nc_u32_e32 v16, 0xfffffc10, v16
	v_lshl_or_b32 v12, v8, 16, v4
	v_fmac_f16_e32 v5, v147, v3
	v_lshrrev_b32_e32 v1, v15, v17
	v_cmp_ne_u32_e32 vcc_lo, 0, v9
	v_mul_f16_sdwa v3, v147, v3 dst_sel:DWORD dst_unused:UNUSED_PAD src0_sel:WORD_1 src1_sel:DWORD
	v_cvt_f32_f16_e32 v4, v5
	v_lshlrev_b32_e32 v8, v15, v1
	v_cndmask_b32_e64 v9, 0, 1, vcc_lo
	v_lshrrev_b32_e32 v15, 8, v13
	v_fma_f16 v3, v147, v14, -v3
	v_cvt_f64_f32_e32 v[4:5], v4
	v_cmp_ne_u32_e32 vcc_lo, v8, v17
	v_lshrrev_b32_e32 v13, 16, v13
	v_and_or_b32 v15, 0xffe, v15, v9
	v_sub_nc_u32_e32 v9, 0x3f1, v18
	v_cvt_f32_f16_e32 v3, v3
	v_cndmask_b32_e64 v8, 0, 1, vcc_lo
	v_cmp_gt_i32_e32 vcc_lo, 1, v16
	v_or_b32_e32 v17, 0x1000, v15
	v_med3_i32 v9, v9, 0, 13
	v_or_b32_e32 v1, v1, v8
	v_lshl_or_b32 v8, v16, 12, v6
	v_lshrrev_b32_e32 v19, v9, v17
	v_cndmask_b32_e32 v1, v8, v1, vcc_lo
	v_add_co_u32 v8, vcc_lo, v10, s5
	v_lshlrev_b32_e32 v20, v9, v19
	v_add_co_ci_u32_e32 v9, vcc_lo, s4, v11, vcc_lo
	v_and_b32_e32 v14, 7, v1
	v_mul_f64 v[4:5], v[4:5], s[6:7]
	v_cmp_ne_u32_e64 s0, v20, v17
	v_cvt_f64_f32_e32 v[10:11], v3
	v_lshrrev_b32_e32 v1, 2, v1
	v_cmp_lt_i32_e32 vcc_lo, 5, v14
	v_add_nc_u32_e32 v17, 0xfffffc10, v18
	v_cndmask_b32_e64 v3, 0, 1, s0
	v_cmp_eq_u32_e64 s0, 3, v14
	global_store_dword v[8:9], v12, off
	v_lshl_or_b32 v12, v17, 12, v15
	v_or_b32_e32 v3, v19, v3
	s_or_b32 vcc_lo, s0, vcc_lo
	v_add_co_ci_u32_e32 v1, vcc_lo, 0, v1, vcc_lo
	v_cmp_ne_u32_e32 vcc_lo, 0, v6
	v_cndmask_b32_e64 v6, 0, 1, vcc_lo
	v_cmp_gt_i32_e32 vcc_lo, 1, v17
	v_lshrrev_b32_e32 v19, 8, v5
	v_mul_f64 v[10:11], v[10:11], s[6:7]
	v_bfe_u32 v20, v5, 20, 11
	v_lshl_or_b32 v6, v6, 9, 0x7c00
	v_cndmask_b32_e32 v12, v12, v3, vcc_lo
	v_and_or_b32 v3, 0x1ff, v5, v4
	v_cmp_gt_i32_e32 vcc_lo, 31, v16
	v_and_b32_e32 v14, 7, v12
	v_cndmask_b32_e32 v1, 0x7c00, v1, vcc_lo
	v_cmp_ne_u32_e32 vcc_lo, 0, v3
	ds_read2_b32 v[3:4], v125 offset0:126 offset1:189
	v_cmp_eq_u32_e64 s0, 3, v14
	v_cndmask_b32_e64 v18, 0, 1, vcc_lo
	v_cmp_eq_u32_e32 vcc_lo, 0x40f, v16
	v_and_or_b32 v16, 0xffe, v19, v18
	v_cndmask_b32_e32 v1, v1, v6, vcc_lo
	v_cmp_lt_i32_e32 vcc_lo, 5, v14
	v_lshrrev_b32_e32 v14, 16, v7
	v_lshrrev_b32_e32 v7, 2, v12
	v_sub_nc_u32_e32 v6, 0x3f1, v20
	v_or_b32_e32 v12, 0x1000, v16
	s_or_b32 vcc_lo, s0, vcc_lo
	v_and_or_b32 v10, 0x1ff, v11, v10
	v_add_co_ci_u32_e32 v7, vcc_lo, 0, v7, vcc_lo
	v_med3_i32 v6, v6, 0, 13
	v_cmp_ne_u32_e32 vcc_lo, 0, v15
	s_waitcnt lgkmcnt(0)
	v_lshrrev_b32_e32 v19, 16, v3
	v_lshrrev_b32_e32 v22, 8, v11
	v_bfe_u32 v23, v11, 20, 11
	v_lshrrev_b32_e32 v18, v6, v12
	v_cndmask_b32_e64 v15, 0, 1, vcc_lo
	v_cmp_gt_i32_e32 vcc_lo, 31, v17
	v_add_nc_u32_e32 v20, 0xfffffc10, v20
	v_and_or_b32 v1, 0x8000, v14, v1
	v_lshlrev_b32_e32 v6, v6, v18
	v_lshl_or_b32 v15, v15, 9, 0x7c00
	v_cndmask_b32_e32 v21, 0x7c00, v7, vcc_lo
	v_cmp_ne_u32_e32 vcc_lo, 0, v10
	v_mul_f16_sdwa v7, v146, v19 dst_sel:DWORD dst_unused:UNUSED_PAD src0_sel:WORD_1 src1_sel:DWORD
	v_and_b32_e32 v1, 0xffff, v1
	v_lshrrev_b32_e32 v11, 16, v11
	v_cndmask_b32_e64 v10, 0, 1, vcc_lo
	v_cmp_ne_u32_e32 vcc_lo, v6, v12
	v_sub_nc_u32_e32 v12, 0x3f1, v23
	v_fmac_f16_e32 v7, v146, v3
	v_mul_f16_sdwa v3, v146, v3 dst_sel:DWORD dst_unused:UNUSED_PAD src0_sel:WORD_1 src1_sel:DWORD
	v_and_or_b32 v10, 0xffe, v22, v10
	v_cndmask_b32_e64 v6, 0, 1, vcc_lo
	v_lshl_or_b32 v22, v20, 12, v16
	v_med3_i32 v12, v12, 0, 13
	v_cmp_gt_i32_e32 vcc_lo, 1, v20
	v_or_b32_e32 v24, 0x1000, v10
	v_or_b32_e32 v18, v18, v6
	v_cvt_f32_f16_e32 v7, v7
	v_fma_f16 v3, v146, v19, -v3
	v_add_nc_u32_e32 v19, 0xfffffc10, v23
	v_cndmask_b32_e32 v18, v22, v18, vcc_lo
	v_cmp_eq_u32_e32 vcc_lo, 0x40f, v17
	v_lshrrev_b32_e32 v17, v12, v24
	v_cvt_f64_f32_e32 v[6:7], v7
	v_cvt_f32_f16_e32 v3, v3
	v_and_b32_e32 v14, 7, v18
	v_cndmask_b32_e32 v15, v21, v15, vcc_lo
	v_lshlrev_b32_e32 v12, v12, v17
	v_cmp_lt_i32_e32 vcc_lo, 5, v14
	v_and_or_b32 v15, 0x8000, v13, v15
	v_cmp_ne_u32_e64 s0, v12, v24
	v_lshl_or_b32 v1, v15, 16, v1
	v_cndmask_b32_e64 v12, 0, 1, s0
	v_cmp_eq_u32_e64 s0, 3, v14
	v_lshrrev_b32_e32 v14, 2, v18
	v_lshl_or_b32 v18, v19, 12, v10
	v_or_b32_e32 v17, v17, v12
	s_or_b32 vcc_lo, s0, vcc_lo
	v_cvt_f64_f32_e32 v[12:13], v3
	v_add_co_ci_u32_e32 v3, vcc_lo, 0, v14, vcc_lo
	v_cmp_ne_u32_e32 vcc_lo, 0, v16
	v_mul_f64 v[6:7], v[6:7], s[6:7]
	v_cndmask_b32_e64 v14, 0, 1, vcc_lo
	v_cmp_gt_i32_e32 vcc_lo, 1, v19
	v_lshl_or_b32 v14, v14, 9, 0x7c00
	v_cndmask_b32_e32 v16, v18, v17, vcc_lo
	v_cmp_gt_i32_e32 vcc_lo, 31, v20
	v_and_b32_e32 v15, 7, v16
	v_cndmask_b32_e32 v3, 0x7c00, v3, vcc_lo
	v_add_co_u32 v8, vcc_lo, v8, s3
	v_add_co_ci_u32_e32 v9, vcc_lo, s2, v9, vcc_lo
	v_cmp_eq_u32_e32 vcc_lo, 0x40f, v20
	v_cmp_eq_u32_e64 s0, 3, v15
	v_mul_f64 v[12:13], v[12:13], s[6:7]
	v_and_or_b32 v6, 0x1ff, v7, v6
	v_bfe_u32 v17, v7, 20, 11
	v_cndmask_b32_e32 v3, v3, v14, vcc_lo
	v_cmp_lt_i32_e32 vcc_lo, 5, v15
	v_lshrrev_b32_e32 v14, 2, v16
	v_lshrrev_b32_e32 v15, 16, v5
	;; [unrolled: 1-line block ×3, first 2 shown]
	global_store_dword v[8:9], v1, off
	s_or_b32 vcc_lo, s0, vcc_lo
	v_lshrrev_b32_e32 v7, 16, v7
	v_add_co_ci_u32_e32 v5, vcc_lo, 0, v14, vcc_lo
	v_cmp_ne_u32_e32 vcc_lo, 0, v6
	v_lshrrev_b32_e32 v14, 16, v2
	v_and_or_b32 v3, 0x8000, v15, v3
	v_cndmask_b32_e64 v6, 0, 1, vcc_lo
	v_cmp_ne_u32_e32 vcc_lo, 0, v10
	v_mul_f16_sdwa v18, v145, v14 dst_sel:DWORD dst_unused:UNUSED_PAD src0_sel:WORD_1 src1_sel:DWORD
	v_and_b32_e32 v3, 0xffff, v3
	v_and_or_b32 v12, 0x1ff, v13, v12
	v_and_or_b32 v16, 0xffe, v16, v6
	v_cndmask_b32_e64 v10, 0, 1, vcc_lo
	v_cmp_gt_i32_e32 vcc_lo, 31, v19
	v_sub_nc_u32_e32 v6, 0x3f1, v17
	v_fmac_f16_e32 v18, v145, v2
	v_or_b32_e32 v20, 0x1000, v16
	v_lshl_or_b32 v10, v10, 9, 0x7c00
	v_cndmask_b32_e32 v5, 0x7c00, v5, vcc_lo
	v_cmp_eq_u32_e32 vcc_lo, 0x40f, v19
	v_med3_i32 v21, v6, 0, 13
	v_cvt_f32_f16_e32 v6, v18
	v_lshrrev_b32_e32 v19, 8, v13
	v_bfe_u32 v22, v13, 20, 11
	v_cndmask_b32_e32 v10, v5, v10, vcc_lo
	v_cmp_ne_u32_e32 vcc_lo, 0, v12
	v_lshrrev_b32_e32 v18, v21, v20
	v_cvt_f64_f32_e32 v[5:6], v6
	v_add_nc_u32_e32 v17, 0xfffffc10, v17
	v_and_or_b32 v10, 0x8000, v11, v10
	v_cndmask_b32_e64 v12, 0, 1, vcc_lo
	v_lshlrev_b32_e32 v21, v21, v18
	v_sub_nc_u32_e32 v11, 0x3f1, v22
	v_mul_f16_sdwa v2, v145, v2 dst_sel:DWORD dst_unused:UNUSED_PAD src0_sel:WORD_1 src1_sel:DWORD
	v_lshl_or_b32 v3, v10, 16, v3
	v_and_or_b32 v12, 0xffe, v19, v12
	v_cmp_ne_u32_e32 vcc_lo, v21, v20
	v_med3_i32 v11, v11, 0, 13
	v_fma_f16 v2, v145, v14, -v2
	v_or_b32_e32 v19, 0x1000, v12
	v_cndmask_b32_e64 v15, 0, 1, vcc_lo
	v_cmp_gt_i32_e32 vcc_lo, 1, v17
	v_cvt_f32_f16_e32 v2, v2
	v_lshrrev_b32_e32 v1, v11, v19
	v_or_b32_e32 v15, v18, v15
	v_lshl_or_b32 v18, v17, 12, v16
	v_mul_f64 v[5:6], v[5:6], s[6:7]
	v_lshlrev_b32_e32 v11, v11, v1
	v_cndmask_b32_e32 v10, v18, v15, vcc_lo
	v_add_co_u32 v8, vcc_lo, v8, s3
	v_add_co_ci_u32_e32 v9, vcc_lo, s2, v9, vcc_lo
	v_cmp_ne_u32_e32 vcc_lo, v11, v19
	v_add_nc_u32_e32 v18, 0xfffffc10, v22
	v_and_b32_e32 v15, 7, v10
	v_lshrrev_b32_e32 v14, 2, v10
	global_store_dword v[8:9], v3, off
	v_cndmask_b32_e64 v11, 0, 1, vcc_lo
	v_lshl_or_b32 v3, v18, 12, v12
	v_cmp_gt_i32_e64 s1, 1, v18
	v_cmp_lt_i32_e32 vcc_lo, 5, v15
	v_cmp_eq_u32_e64 s0, 3, v15
	v_or_b32_e32 v1, v1, v11
	v_cvt_f64_f32_e32 v[10:11], v2
	v_add_nc_u32_e32 v19, 0x1200, v125
	s_or_b32 vcc_lo, s0, vcc_lo
	v_cndmask_b32_e64 v3, v3, v1, s1
	v_and_or_b32 v1, 0x1ff, v6, v5
	v_add_co_ci_u32_e32 v5, vcc_lo, 0, v14, vcc_lo
	v_lshrrev_b32_e32 v2, 8, v6
	v_and_b32_e32 v14, 7, v3
	v_cmp_ne_u32_e32 vcc_lo, 0, v1
	v_bfe_u32 v15, v6, 20, 11
	v_lshrrev_b32_e32 v3, 2, v3
	v_cmp_gt_i32_e64 s1, 31, v17
	v_cmp_eq_u32_e64 s0, 3, v14
	v_cndmask_b32_e64 v1, 0, 1, vcc_lo
	v_cmp_ne_u32_e32 vcc_lo, 0, v16
	v_sub_nc_u32_e32 v21, 0x3f1, v15
	v_cndmask_b32_e64 v5, 0x7c00, v5, s1
	v_and_or_b32 v20, 0xffe, v2, v1
	v_cndmask_b32_e64 v16, 0, 1, vcc_lo
	v_cmp_lt_i32_e32 vcc_lo, 5, v14
	ds_read2_b32 v[1:2], v19 offset0:108 offset1:171
	v_mul_f64 v[10:11], v[10:11], s[6:7]
	v_or_b32_e32 v14, 0x1000, v20
	v_med3_i32 v19, v21, 0, 13
	s_or_b32 vcc_lo, s0, vcc_lo
	v_lshl_or_b32 v16, v16, 9, 0x7c00
	v_add_co_ci_u32_e32 v3, vcc_lo, 0, v3, vcc_lo
	v_cmp_eq_u32_e32 vcc_lo, 0x40f, v17
	v_lshrrev_b32_e32 v21, v19, v14
	v_cndmask_b32_e32 v5, v5, v16, vcc_lo
	v_cmp_gt_i32_e32 vcc_lo, 31, v18
	v_lshlrev_b32_e32 v16, v19, v21
	v_and_or_b32 v5, 0x8000, v7, v5
	v_cndmask_b32_e32 v3, 0x7c00, v3, vcc_lo
	v_cmp_ne_u32_e32 vcc_lo, 0, v12
	s_waitcnt lgkmcnt(0)
	v_lshrrev_b32_e32 v17, 16, v1
	v_and_or_b32 v10, 0x1ff, v11, v10
	v_bfe_u32 v22, v11, 20, 11
	v_cndmask_b32_e64 v12, 0, 1, vcc_lo
	v_cmp_ne_u32_e32 vcc_lo, v16, v14
	v_add_nc_u32_e32 v16, 0xfffffc10, v15
	v_mul_f16_sdwa v15, v144, v17 dst_sel:DWORD dst_unused:UNUSED_PAD src0_sel:WORD_1 src1_sel:DWORD
	v_and_b32_e32 v5, 0xffff, v5
	v_lshl_or_b32 v12, v12, 9, 0x7c00
	v_cndmask_b32_e64 v14, 0, 1, vcc_lo
	v_cmp_ne_u32_e32 vcc_lo, 0, v10
	v_fmac_f16_e32 v15, v144, v1
	v_lshl_or_b32 v19, v16, 12, v20
	v_mul_f16_sdwa v1, v144, v1 dst_sel:DWORD dst_unused:UNUSED_PAD src0_sel:WORD_1 src1_sel:DWORD
	v_or_b32_e32 v14, v21, v14
	v_cndmask_b32_e64 v10, 0, 1, vcc_lo
	v_lshrrev_b32_e32 v21, 8, v11
	v_cmp_gt_i32_e32 vcc_lo, 1, v16
	v_cvt_f32_f16_e32 v15, v15
	v_fma_f16 v1, v144, v17, -v1
	v_lshrrev_b32_e32 v11, 16, v11
	v_and_or_b32 v10, 0xffe, v21, v10
	v_sub_nc_u32_e32 v21, 0x3f1, v22
	v_cndmask_b32_e32 v19, v19, v14, vcc_lo
	v_cmp_eq_u32_e32 vcc_lo, 0x40f, v18
	v_cvt_f64_f32_e32 v[14:15], v15
	v_or_b32_e32 v18, 0x1000, v10
	v_med3_i32 v21, v21, 0, 13
	v_cvt_f32_f16_e32 v1, v1
	v_cndmask_b32_e32 v3, v3, v12, vcc_lo
	v_lshrrev_b32_e32 v12, 16, v13
	v_and_b32_e32 v13, 7, v19
	v_lshrrev_b32_e32 v7, v21, v18
	v_and_or_b32 v3, 0x8000, v12, v3
	v_cmp_lt_i32_e32 vcc_lo, 5, v13
	v_cmp_eq_u32_e64 s0, 3, v13
	v_lshrrev_b32_e32 v12, 2, v19
	v_lshlrev_b32_e32 v13, v21, v7
	v_add_nc_u32_e32 v19, 0xfffffc10, v22
	v_lshl_or_b32 v3, v3, 16, v5
	s_or_b32 vcc_lo, s0, vcc_lo
	v_add_co_ci_u32_e32 v17, vcc_lo, 0, v12, vcc_lo
	v_cmp_ne_u32_e32 vcc_lo, v13, v18
	v_mul_f64 v[12:13], v[14:15], s[6:7]
	v_cvt_f64_f32_e32 v[14:15], v1
	v_cndmask_b32_e64 v18, 0, 1, vcc_lo
	v_cmp_ne_u32_e32 vcc_lo, 0, v20
	v_or_b32_e32 v7, v7, v18
	v_cndmask_b32_e64 v1, 0, 1, vcc_lo
	v_cmp_gt_i32_e32 vcc_lo, 31, v16
	v_lshl_or_b32 v18, v19, 12, v10
	v_lshl_or_b32 v1, v1, 9, 0x7c00
	v_cndmask_b32_e32 v17, 0x7c00, v17, vcc_lo
	v_cmp_gt_i32_e32 vcc_lo, 1, v19
	v_cndmask_b32_e32 v18, v18, v7, vcc_lo
	v_cmp_eq_u32_e32 vcc_lo, 0x40f, v16
	v_lshrrev_b32_e32 v7, 16, v6
	v_and_b32_e32 v16, 7, v18
	v_cndmask_b32_e32 v1, v17, v1, vcc_lo
	v_add_co_u32 v5, vcc_lo, v8, s5
	v_add_co_ci_u32_e32 v6, vcc_lo, s4, v9, vcc_lo
	v_and_or_b32 v9, 0x1ff, v13, v12
	v_and_or_b32 v1, 0x8000, v7, v1
	v_mul_f64 v[7:8], v[14:15], s[6:7]
	v_cmp_lt_i32_e32 vcc_lo, 5, v16
	v_cmp_eq_u32_e64 s0, 3, v16
	v_cmp_ne_u32_e64 s1, 0, v9
	v_lshrrev_b32_e32 v12, 2, v18
	v_lshrrev_b32_e32 v14, 8, v13
	v_bfe_u32 v15, v13, 20, 11
	s_or_b32 vcc_lo, s0, vcc_lo
	v_cndmask_b32_e64 v9, 0, 1, s1
	v_add_co_ci_u32_e32 v12, vcc_lo, 0, v12, vcc_lo
	v_lshrrev_b32_e32 v16, 16, v4
	v_cmp_ne_u32_e32 vcc_lo, 0, v10
	v_and_or_b32 v14, 0xffe, v14, v9
	v_sub_nc_u32_e32 v9, 0x3f1, v15
	v_add_nc_u32_e32 v15, 0xfffffc10, v15
	v_mul_f16_sdwa v18, v143, v16 dst_sel:DWORD dst_unused:UNUSED_PAD src0_sel:WORD_1 src1_sel:DWORD
	v_cndmask_b32_e64 v10, 0, 1, vcc_lo
	v_or_b32_e32 v17, 0x1000, v14
	v_med3_i32 v9, v9, 0, 13
	v_cmp_gt_i32_e32 vcc_lo, 31, v19
	v_fmac_f16_e32 v18, v143, v4
	v_lshl_or_b32 v10, v10, 9, 0x7c00
	v_and_or_b32 v7, 0x1ff, v8, v7
	v_lshrrev_b32_e32 v20, v9, v17
	v_cndmask_b32_e32 v12, 0x7c00, v12, vcc_lo
	v_cmp_eq_u32_e32 vcc_lo, 0x40f, v19
	v_lshrrev_b32_e32 v19, 8, v8
	v_bfe_u32 v21, v8, 20, 11
	v_mul_f16_sdwa v4, v143, v4 dst_sel:DWORD dst_unused:UNUSED_PAD src0_sel:WORD_1 src1_sel:DWORD
	v_and_b32_e32 v1, 0xffff, v1
	v_cndmask_b32_e32 v12, v12, v10, vcc_lo
	v_cvt_f32_f16_e32 v10, v18
	v_lshlrev_b32_e32 v18, v9, v20
	v_cmp_ne_u32_e32 vcc_lo, 0, v7
	global_store_dword v[5:6], v3, off
	v_and_or_b32 v11, 0x8000, v11, v12
	v_cvt_f64_f32_e32 v[9:10], v10
	v_fma_f16 v3, v143, v16, -v4
	v_cndmask_b32_e64 v7, 0, 1, vcc_lo
	v_cmp_ne_u32_e32 vcc_lo, v18, v17
	v_sub_nc_u32_e32 v18, 0x3f1, v21
	v_lshl_or_b32 v1, v11, 16, v1
	v_cvt_f32_f16_e32 v3, v3
	v_and_or_b32 v7, 0xffe, v19, v7
	v_cndmask_b32_e64 v17, 0, 1, vcc_lo
	v_med3_i32 v18, v18, 0, 13
	v_cmp_gt_i32_e32 vcc_lo, 1, v15
	v_cvt_f64_f32_e32 v[3:4], v3
	v_or_b32_e32 v19, 0x1000, v7
	v_or_b32_e32 v12, v20, v17
	v_lshl_or_b32 v17, v15, 12, v14
	v_lshrrev_b32_e32 v8, 16, v8
	v_cndmask_b32_e32 v12, v17, v12, vcc_lo
	v_lshrrev_b32_e32 v17, v18, v19
	v_add_co_u32 v5, vcc_lo, v5, s3
	v_mul_f64 v[9:10], v[9:10], s[6:7]
	v_and_b32_e32 v11, 7, v12
	v_lshlrev_b32_e32 v16, v18, v17
	v_add_co_ci_u32_e32 v6, vcc_lo, s2, v6, vcc_lo
	v_add_nc_u32_e32 v18, 0xfffffc10, v21
	v_cmp_lt_i32_e32 vcc_lo, 5, v11
	v_cmp_ne_u32_e64 s0, v16, v19
	global_store_dword v[5:6], v1, off
	v_lshrrev_b32_e32 v1, 2, v12
	v_lshl_or_b32 v12, v18, 12, v7
	v_cndmask_b32_e64 v16, 0, 1, s0
	v_cmp_eq_u32_e64 s0, 3, v11
	v_or_b32_e32 v11, v17, v16
	s_or_b32 vcc_lo, s0, vcc_lo
	v_add_nc_u32_e32 v17, 0xa00, v125
	v_add_co_ci_u32_e32 v1, vcc_lo, 0, v1, vcc_lo
	v_cmp_ne_u32_e32 vcc_lo, 0, v14
	v_and_or_b32 v9, 0x1ff, v10, v9
	v_bfe_u32 v20, v10, 20, 11
	v_cndmask_b32_e64 v14, 0, 1, vcc_lo
	v_cmp_gt_i32_e32 vcc_lo, 1, v18
	v_lshl_or_b32 v14, v14, 9, 0x7c00
	v_cndmask_b32_e32 v16, v12, v11, vcc_lo
	v_cmp_gt_i32_e32 vcc_lo, 31, v15
	v_mul_f64 v[11:12], v[3:4], s[6:7]
	ds_read2_b32 v[3:4], v17 offset0:116 offset1:179
	v_lshrrev_b32_e32 v17, 8, v10
	v_and_b32_e32 v19, 7, v16
	v_cndmask_b32_e32 v1, 0x7c00, v1, vcc_lo
	v_cmp_ne_u32_e32 vcc_lo, 0, v9
	v_cmp_eq_u32_e64 s0, 3, v19
	v_cndmask_b32_e64 v9, 0, 1, vcc_lo
	v_cmp_eq_u32_e32 vcc_lo, 0x40f, v15
	v_lshrrev_b32_e32 v15, 16, v13
	v_lshrrev_b32_e32 v13, 2, v16
	v_and_or_b32 v9, 0xffe, v17, v9
	v_cndmask_b32_e32 v1, v1, v14, vcc_lo
	v_cmp_lt_i32_e32 vcc_lo, 5, v19
	v_sub_nc_u32_e32 v14, 0x3f1, v20
	v_or_b32_e32 v16, 0x1000, v9
	s_waitcnt lgkmcnt(0)
	v_lshrrev_b32_e32 v19, 16, v3
	s_or_b32 vcc_lo, s0, vcc_lo
	v_med3_i32 v14, v14, 0, 13
	v_add_co_ci_u32_e32 v13, vcc_lo, 0, v13, vcc_lo
	v_cmp_ne_u32_e32 vcc_lo, 0, v7
	v_and_or_b32 v11, 0x1ff, v12, v11
	v_lshrrev_b32_e32 v17, v14, v16
	v_lshrrev_b32_e32 v22, 8, v12
	v_bfe_u32 v23, v12, 20, 11
	v_cndmask_b32_e64 v7, 0, 1, vcc_lo
	v_cmp_gt_i32_e32 vcc_lo, 31, v18
	v_and_or_b32 v1, 0x8000, v15, v1
	v_lshrrev_b32_e32 v12, 16, v12
	v_lshl_or_b32 v7, v7, 9, 0x7c00
	v_cndmask_b32_e32 v21, 0x7c00, v13, vcc_lo
	v_lshlrev_b32_e32 v13, v14, v17
	v_cmp_ne_u32_e32 vcc_lo, 0, v11
	v_mul_f16_sdwa v14, v142, v19 dst_sel:DWORD dst_unused:UNUSED_PAD src0_sel:WORD_1 src1_sel:DWORD
	v_and_b32_e32 v1, 0xffff, v1
	v_cndmask_b32_e64 v11, 0, 1, vcc_lo
	v_cmp_ne_u32_e32 vcc_lo, v13, v16
	v_fmac_f16_e32 v14, v142, v3
	v_add_nc_u32_e32 v16, 0xfffffc10, v20
	v_sub_nc_u32_e32 v20, 0x3f1, v23
	v_and_or_b32 v11, 0xffe, v22, v11
	v_cndmask_b32_e64 v13, 0, 1, vcc_lo
	v_cvt_f32_f16_e32 v14, v14
	v_lshl_or_b32 v22, v16, 12, v9
	v_med3_i32 v20, v20, 0, 13
	v_or_b32_e32 v24, 0x1000, v11
	v_or_b32_e32 v17, v17, v13
	v_cmp_gt_i32_e32 vcc_lo, 1, v16
	v_cvt_f64_f32_e32 v[13:14], v14
	v_mul_f16_sdwa v3, v142, v3 dst_sel:DWORD dst_unused:UNUSED_PAD src0_sel:WORD_1 src1_sel:DWORD
	v_cndmask_b32_e32 v17, v22, v17, vcc_lo
	v_cmp_eq_u32_e32 vcc_lo, 0x40f, v18
	v_lshrrev_b32_e32 v18, v20, v24
	v_fma_f16 v3, v142, v19, -v3
	v_add_nc_u32_e32 v19, 0xfffffc10, v23
	v_and_b32_e32 v15, 7, v17
	v_cndmask_b32_e32 v7, v21, v7, vcc_lo
	v_lshlrev_b32_e32 v20, v20, v18
	v_cvt_f32_f16_e32 v3, v3
	v_cmp_lt_i32_e32 vcc_lo, 5, v15
	v_and_or_b32 v21, 0x8000, v8, v7
	v_cmp_ne_u32_e64 s0, v20, v24
	v_lshl_or_b32 v1, v21, 16, v1
	v_cndmask_b32_e64 v7, 0, 1, s0
	v_cmp_eq_u32_e64 s0, 3, v15
	v_lshrrev_b32_e32 v15, 2, v17
	v_or_b32_e32 v17, v18, v7
	s_or_b32 vcc_lo, s0, vcc_lo
	v_mul_f64 v[7:8], v[13:14], s[6:7]
	v_cvt_f64_f32_e32 v[13:14], v3
	v_add_co_ci_u32_e32 v3, vcc_lo, 0, v15, vcc_lo
	v_cmp_ne_u32_e32 vcc_lo, 0, v9
	v_lshl_or_b32 v18, v19, 12, v11
	v_cndmask_b32_e64 v9, 0, 1, vcc_lo
	v_cmp_gt_i32_e32 vcc_lo, 1, v19
	v_lshl_or_b32 v9, v9, 9, 0x7c00
	v_cndmask_b32_e32 v15, v18, v17, vcc_lo
	v_cmp_gt_i32_e32 vcc_lo, 31, v16
	v_and_b32_e32 v17, 7, v15
	v_cndmask_b32_e32 v3, 0x7c00, v3, vcc_lo
	v_add_co_u32 v5, vcc_lo, v5, s3
	v_add_co_ci_u32_e32 v6, vcc_lo, s2, v6, vcc_lo
	v_cmp_eq_u32_e32 vcc_lo, 0x40f, v16
	v_cmp_eq_u32_e64 s0, 3, v17
	v_mul_f64 v[13:14], v[13:14], s[6:7]
	v_and_or_b32 v7, 0x1ff, v8, v7
	v_lshrrev_b32_e32 v16, 16, v2
	v_cndmask_b32_e32 v3, v3, v9, vcc_lo
	v_cmp_lt_i32_e32 vcc_lo, 5, v17
	v_lshrrev_b32_e32 v9, 2, v15
	v_lshrrev_b32_e32 v15, 16, v10
	;; [unrolled: 1-line block ×3, first 2 shown]
	v_bfe_u32 v17, v8, 20, 11
	s_or_b32 vcc_lo, s0, vcc_lo
	v_mul_f16_sdwa v18, v141, v16 dst_sel:DWORD dst_unused:UNUSED_PAD src0_sel:WORD_1 src1_sel:DWORD
	v_add_co_ci_u32_e32 v9, vcc_lo, 0, v9, vcc_lo
	v_cmp_ne_u32_e32 vcc_lo, 0, v7
	v_and_or_b32 v3, 0x8000, v15, v3
	v_fmac_f16_e32 v18, v141, v2
	global_store_dword v[5:6], v1, off
	v_mul_f16_sdwa v2, v141, v2 dst_sel:DWORD dst_unused:UNUSED_PAD src0_sel:WORD_1 src1_sel:DWORD
	v_cndmask_b32_e64 v7, 0, 1, vcc_lo
	v_cmp_ne_u32_e32 vcc_lo, 0, v11
	v_and_b32_e32 v3, 0xffff, v3
	v_and_or_b32 v13, 0x1ff, v14, v13
	v_and_or_b32 v7, 0xffe, v10, v7
	v_cndmask_b32_e64 v11, 0, 1, vcc_lo
	v_cmp_gt_i32_e32 vcc_lo, 31, v19
	v_sub_nc_u32_e32 v10, 0x3f1, v17
	v_bfe_u32 v22, v14, 20, 11
	v_or_b32_e32 v20, 0x1000, v7
	v_lshl_or_b32 v11, v11, 9, 0x7c00
	v_cndmask_b32_e32 v9, 0x7c00, v9, vcc_lo
	v_cmp_eq_u32_e32 vcc_lo, 0x40f, v19
	v_med3_i32 v21, v10, 0, 13
	v_cvt_f32_f16_e32 v10, v18
	v_lshrrev_b32_e32 v19, 8, v14
	v_add_nc_u32_e32 v17, 0xfffffc10, v17
	v_cndmask_b32_e32 v11, v9, v11, vcc_lo
	v_cmp_ne_u32_e32 vcc_lo, 0, v13
	v_lshrrev_b32_e32 v18, v21, v20
	v_cvt_f64_f32_e32 v[9:10], v10
	v_fma_f16 v2, v141, v16, -v2
	v_and_or_b32 v11, 0x8000, v12, v11
	v_cndmask_b32_e64 v13, 0, 1, vcc_lo
	v_lshlrev_b32_e32 v21, v21, v18
	v_sub_nc_u32_e32 v12, 0x3f1, v22
	v_cvt_f32_f16_e32 v2, v2
	v_lshl_or_b32 v3, v11, 16, v3
	v_and_or_b32 v13, 0xffe, v19, v13
	v_cmp_ne_u32_e32 vcc_lo, v21, v20
	v_med3_i32 v12, v12, 0, 13
	v_add_nc_u32_e32 v16, 0xfffffc10, v22
	v_or_b32_e32 v19, 0x1000, v13
	v_cndmask_b32_e64 v15, 0, 1, vcc_lo
	v_cmp_gt_i32_e32 vcc_lo, 1, v17
	v_cmp_gt_i32_e64 s1, 1, v16
	v_lshrrev_b32_e32 v1, v12, v19
	v_or_b32_e32 v15, v18, v15
	v_lshl_or_b32 v18, v17, 12, v7
	v_mul_f64 v[9:10], v[9:10], s[6:7]
	v_lshlrev_b32_e32 v12, v12, v1
	v_cndmask_b32_e32 v11, v18, v15, vcc_lo
	v_add_co_u32 v5, vcc_lo, v5, s5
	v_add_co_ci_u32_e32 v6, vcc_lo, s4, v6, vcc_lo
	v_cmp_ne_u32_e32 vcc_lo, v12, v19
	v_and_b32_e32 v15, 7, v11
	v_add_nc_u32_e32 v19, 0x200, v125
	global_store_dword v[5:6], v3, off
	v_lshl_or_b32 v3, v16, 12, v13
	v_cndmask_b32_e64 v12, 0, 1, vcc_lo
	v_cmp_lt_i32_e32 vcc_lo, 5, v15
	v_cmp_eq_u32_e64 s0, 3, v15
	v_lshrrev_b32_e32 v15, 2, v11
	v_or_b32_e32 v1, v1, v12
	v_cvt_f64_f32_e32 v[11:12], v2
	s_or_b32 vcc_lo, s0, vcc_lo
	v_lshrrev_b32_e32 v2, 8, v10
	v_cndmask_b32_e64 v3, v3, v1, s1
	v_and_or_b32 v1, 0x1ff, v10, v9
	v_add_co_ci_u32_e32 v9, vcc_lo, 0, v15, vcc_lo
	v_bfe_u32 v18, v10, 20, 11
	v_and_b32_e32 v15, 7, v3
	v_cmp_ne_u32_e32 vcc_lo, 0, v1
	v_lshrrev_b32_e32 v3, 2, v3
	v_cmp_gt_i32_e64 s1, 31, v17
	v_sub_nc_u32_e32 v21, 0x3f1, v18
	v_cmp_eq_u32_e64 s0, 3, v15
	v_cndmask_b32_e64 v1, 0, 1, vcc_lo
	v_cmp_ne_u32_e32 vcc_lo, 0, v7
	v_cndmask_b32_e64 v9, 0x7c00, v9, s1
	v_and_or_b32 v20, 0xffe, v2, v1
	v_cndmask_b32_e64 v7, 0, 1, vcc_lo
	v_cmp_lt_i32_e32 vcc_lo, 5, v15
	ds_read2_b32 v[1:2], v19 offset0:124 offset1:187
	v_mul_f64 v[11:12], v[11:12], s[6:7]
	v_or_b32_e32 v15, 0x1000, v20
	v_med3_i32 v19, v21, 0, 13
	s_or_b32 vcc_lo, s0, vcc_lo
	v_lshl_or_b32 v7, v7, 9, 0x7c00
	v_add_co_ci_u32_e32 v3, vcc_lo, 0, v3, vcc_lo
	v_cmp_eq_u32_e32 vcc_lo, 0x40f, v17
	v_lshrrev_b32_e32 v21, v19, v15
	v_lshrrev_b32_e32 v17, 16, v8
	v_cndmask_b32_e32 v9, v9, v7, vcc_lo
	v_cmp_gt_i32_e32 vcc_lo, 31, v16
	v_lshlrev_b32_e32 v7, v19, v21
	v_and_or_b32 v9, 0x8000, v17, v9
	v_cndmask_b32_e32 v3, 0x7c00, v3, vcc_lo
	v_cmp_ne_u32_e32 vcc_lo, 0, v13
	s_waitcnt lgkmcnt(0)
	v_lshrrev_b32_e32 v19, 16, v1
	v_and_or_b32 v11, 0x1ff, v12, v11
	v_bfe_u32 v22, v12, 20, 11
	v_cndmask_b32_e64 v8, 0, 1, vcc_lo
	v_cmp_ne_u32_e32 vcc_lo, v7, v15
	v_mul_f16_sdwa v13, v139, v19 dst_sel:DWORD dst_unused:UNUSED_PAD src0_sel:WORD_1 src1_sel:DWORD
	v_add_nc_u32_e32 v15, 0xfffffc10, v18
	v_and_b32_e32 v9, 0xffff, v9
	v_lshl_or_b32 v18, v8, 9, 0x7c00
	v_cndmask_b32_e64 v7, 0, 1, vcc_lo
	v_cmp_ne_u32_e32 vcc_lo, 0, v11
	v_fmac_f16_e32 v13, v139, v1
	v_lshl_or_b32 v8, v15, 12, v20
	v_mul_f16_sdwa v1, v139, v1 dst_sel:DWORD dst_unused:UNUSED_PAD src0_sel:WORD_1 src1_sel:DWORD
	v_or_b32_e32 v7, v21, v7
	v_cndmask_b32_e64 v11, 0, 1, vcc_lo
	v_lshrrev_b32_e32 v21, 8, v12
	v_cmp_gt_i32_e32 vcc_lo, 1, v15
	v_cvt_f32_f16_e32 v13, v13
	v_fma_f16 v1, v139, v19, -v1
	v_add_nc_u32_e32 v19, 0xfffffc10, v22
	v_and_or_b32 v11, 0xffe, v21, v11
	v_cndmask_b32_e32 v23, v8, v7, vcc_lo
	v_sub_nc_u32_e32 v21, 0x3f1, v22
	v_cmp_eq_u32_e32 vcc_lo, 0x40f, v16
	v_cvt_f64_f32_e32 v[7:8], v13
	v_or_b32_e32 v16, 0x1000, v11
	v_lshrrev_b32_e32 v13, 16, v14
	v_and_b32_e32 v14, 7, v23
	v_cndmask_b32_e32 v3, v3, v18, vcc_lo
	v_med3_i32 v18, v21, 0, 13
	v_cvt_f32_f16_e32 v1, v1
	v_cmp_lt_i32_e32 vcc_lo, 5, v14
	v_cmp_eq_u32_e64 s0, 3, v14
	v_lshrrev_b32_e32 v17, v18, v16
	v_and_or_b32 v3, 0x8000, v13, v3
	v_lshrrev_b32_e32 v13, 2, v23
	s_or_b32 vcc_lo, s0, vcc_lo
	v_lshlrev_b32_e32 v14, v18, v17
	v_lshl_or_b32 v3, v3, 16, v9
	v_add_co_ci_u32_e32 v18, vcc_lo, 0, v13, vcc_lo
	v_lshrrev_b32_e32 v9, 16, v10
	v_cmp_ne_u32_e32 vcc_lo, v14, v16
	v_cvt_f64_f32_e32 v[13:14], v1
	v_mul_f64 v[7:8], v[7:8], s[6:7]
	v_cndmask_b32_e64 v16, 0, 1, vcc_lo
	v_cmp_ne_u32_e32 vcc_lo, 0, v20
	v_or_b32_e32 v16, v17, v16
	v_cndmask_b32_e64 v1, 0, 1, vcc_lo
	v_cmp_gt_i32_e32 vcc_lo, 31, v15
	v_lshl_or_b32 v17, v19, 12, v11
	v_lshl_or_b32 v1, v1, 9, 0x7c00
	v_cndmask_b32_e32 v18, 0x7c00, v18, vcc_lo
	v_cmp_gt_i32_e32 vcc_lo, 1, v19
	v_cndmask_b32_e32 v16, v17, v16, vcc_lo
	v_cmp_eq_u32_e32 vcc_lo, 0x40f, v15
	v_and_or_b32 v7, 0x1ff, v8, v7
	v_bfe_u32 v15, v8, 20, 11
	v_and_b32_e32 v10, 7, v16
	v_cndmask_b32_e32 v1, v18, v1, vcc_lo
	v_add_co_u32 v5, vcc_lo, v5, s3
	v_add_co_ci_u32_e32 v6, vcc_lo, s2, v6, vcc_lo
	v_and_or_b32 v1, 0x8000, v9, v1
	v_cmp_lt_i32_e32 vcc_lo, 5, v10
	v_cmp_eq_u32_e64 s0, 3, v10
	v_mul_f64 v[9:10], v[13:14], s[6:7]
	v_cmp_ne_u32_e64 s1, 0, v7
	v_lshrrev_b32_e32 v13, 2, v16
	v_lshrrev_b32_e32 v14, 8, v8
	s_or_b32 vcc_lo, s0, vcc_lo
	v_lshrrev_b32_e32 v16, 16, v4
	v_cndmask_b32_e64 v7, 0, 1, s1
	v_add_co_ci_u32_e32 v13, vcc_lo, 0, v13, vcc_lo
	v_cmp_ne_u32_e32 vcc_lo, 0, v11
	v_mul_f16_sdwa v18, v140, v16 dst_sel:DWORD dst_unused:UNUSED_PAD src0_sel:WORD_1 src1_sel:DWORD
	v_and_or_b32 v7, 0xffe, v14, v7
	v_sub_nc_u32_e32 v14, 0x3f1, v15
	v_add_nc_u32_e32 v15, 0xfffffc10, v15
	v_cndmask_b32_e64 v11, 0, 1, vcc_lo
	v_cmp_gt_i32_e32 vcc_lo, 31, v19
	v_or_b32_e32 v17, 0x1000, v7
	v_med3_i32 v14, v14, 0, 13
	v_fmac_f16_e32 v18, v140, v4
	v_lshl_or_b32 v11, v11, 9, 0x7c00
	v_cndmask_b32_e32 v13, 0x7c00, v13, vcc_lo
	v_cmp_eq_u32_e32 vcc_lo, 0x40f, v19
	v_lshrrev_b32_e32 v20, v14, v17
	v_and_or_b32 v9, 0x1ff, v10, v9
	v_bfe_u32 v21, v10, 20, 11
	v_lshrrev_b32_e32 v19, 16, v12
	v_cndmask_b32_e32 v13, v13, v11, vcc_lo
	v_lshlrev_b32_e32 v14, v14, v20
	v_cmp_ne_u32_e32 vcc_lo, 0, v9
	v_cvt_f32_f16_e32 v11, v18
	v_lshrrev_b32_e32 v18, 8, v10
	v_and_or_b32 v13, 0x8000, v19, v13
	v_mul_f16_sdwa v4, v140, v4 dst_sel:DWORD dst_unused:UNUSED_PAD src0_sel:WORD_1 src1_sel:DWORD
	v_cndmask_b32_e64 v9, 0, 1, vcc_lo
	v_cmp_ne_u32_e32 vcc_lo, v14, v17
	v_cvt_f64_f32_e32 v[11:12], v11
	v_sub_nc_u32_e32 v17, 0x3f1, v21
	v_and_b32_e32 v1, 0xffff, v1
	v_and_or_b32 v9, 0xffe, v18, v9
	v_cndmask_b32_e64 v14, 0, 1, vcc_lo
	v_lshl_or_b32 v18, v15, 12, v7
	v_med3_i32 v17, v17, 0, 13
	v_cmp_gt_i32_e32 vcc_lo, 1, v15
	v_or_b32_e32 v19, 0x1000, v9
	v_or_b32_e32 v14, v20, v14
	global_store_dword v[5:6], v3, off
	v_fma_f16 v3, v140, v16, -v4
	v_lshl_or_b32 v1, v13, 16, v1
	v_lshrrev_b32_e32 v10, 16, v10
	v_cndmask_b32_e32 v14, v18, v14, vcc_lo
	v_lshrrev_b32_e32 v18, v17, v19
	v_add_co_u32 v5, vcc_lo, v5, s3
	v_cvt_f32_f16_e32 v3, v3
	v_and_b32_e32 v13, 7, v14
	v_lshlrev_b32_e32 v16, v17, v18
	v_add_co_ci_u32_e32 v6, vcc_lo, s2, v6, vcc_lo
	v_mul_f64 v[11:12], v[11:12], s[6:7]
	v_cmp_lt_i32_e32 vcc_lo, 5, v13
	v_cmp_ne_u32_e64 s0, v16, v19
	v_cvt_f64_f32_e32 v[3:4], v3
	global_store_dword v[5:6], v1, off
	v_lshrrev_b32_e32 v1, 2, v14
	v_add_nc_u32_e32 v17, 0xfffffc10, v21
	v_cndmask_b32_e64 v16, 0, 1, s0
	v_cmp_eq_u32_e64 s0, 3, v13
	v_lshl_or_b32 v14, v17, 12, v9
	v_or_b32_e32 v13, v18, v16
	s_or_b32 vcc_lo, s0, vcc_lo
	v_add_nc_u32_e32 v18, 0x1400, v125
	v_add_co_ci_u32_e32 v1, vcc_lo, 0, v1, vcc_lo
	v_cmp_ne_u32_e32 vcc_lo, 0, v7
	v_cndmask_b32_e64 v7, 0, 1, vcc_lo
	v_cmp_gt_i32_e32 vcc_lo, 1, v17
	v_and_or_b32 v11, 0x1ff, v12, v11
	v_bfe_u32 v20, v12, 20, 11
	v_lshl_or_b32 v7, v7, 9, 0x7c00
	v_cndmask_b32_e32 v16, v14, v13, vcc_lo
	v_cmp_gt_i32_e32 vcc_lo, 31, v15
	v_mul_f64 v[13:14], v[3:4], s[6:7]
	ds_read2_b32 v[3:4], v18 offset0:106 offset1:169
	v_lshrrev_b32_e32 v18, 8, v12
	v_and_b32_e32 v19, 7, v16
	v_cndmask_b32_e32 v1, 0x7c00, v1, vcc_lo
	v_cmp_ne_u32_e32 vcc_lo, 0, v11
	v_cmp_eq_u32_e64 s0, 3, v19
	v_cndmask_b32_e64 v11, 0, 1, vcc_lo
	v_cmp_eq_u32_e32 vcc_lo, 0x40f, v15
	v_lshrrev_b32_e32 v15, 16, v8
	v_lshrrev_b32_e32 v8, 2, v16
	v_and_or_b32 v11, 0xffe, v18, v11
	v_cndmask_b32_e32 v1, v1, v7, vcc_lo
	v_cmp_lt_i32_e32 vcc_lo, 5, v19
	v_sub_nc_u32_e32 v7, 0x3f1, v20
	v_or_b32_e32 v16, 0x1000, v11
	s_waitcnt lgkmcnt(0)
	v_lshrrev_b32_e32 v19, 16, v3
	s_or_b32 vcc_lo, s0, vcc_lo
	v_med3_i32 v7, v7, 0, 13
	v_add_co_ci_u32_e32 v8, vcc_lo, 0, v8, vcc_lo
	v_cmp_ne_u32_e32 vcc_lo, 0, v9
	v_and_or_b32 v13, 0x1ff, v14, v13
	v_lshrrev_b32_e32 v18, v7, v16
	v_lshrrev_b32_e32 v22, 8, v14
	v_bfe_u32 v23, v14, 20, 11
	v_cndmask_b32_e64 v9, 0, 1, vcc_lo
	v_cmp_gt_i32_e32 vcc_lo, 31, v17
	v_lshlrev_b32_e32 v7, v7, v18
	v_and_or_b32 v1, 0x8000, v15, v1
	v_lshrrev_b32_e32 v14, 16, v14
	v_lshl_or_b32 v9, v9, 9, 0x7c00
	v_cndmask_b32_e32 v21, 0x7c00, v8, vcc_lo
	v_cmp_ne_u32_e32 vcc_lo, 0, v13
	v_mul_f16_sdwa v8, v138, v19 dst_sel:DWORD dst_unused:UNUSED_PAD src0_sel:WORD_1 src1_sel:DWORD
	v_and_b32_e32 v1, 0xffff, v1
	v_cndmask_b32_e64 v13, 0, 1, vcc_lo
	v_cmp_ne_u32_e32 vcc_lo, v7, v16
	v_add_nc_u32_e32 v16, 0xfffffc10, v20
	v_sub_nc_u32_e32 v20, 0x3f1, v23
	v_fmac_f16_e32 v8, v138, v3
	v_and_or_b32 v13, 0xffe, v22, v13
	v_cndmask_b32_e64 v7, 0, 1, vcc_lo
	v_lshl_or_b32 v22, v16, 12, v11
	v_med3_i32 v20, v20, 0, 13
	v_cmp_gt_i32_e32 vcc_lo, 1, v16
	v_or_b32_e32 v24, 0x1000, v13
	v_or_b32_e32 v18, v18, v7
	v_cvt_f32_f16_e32 v8, v8
	v_mul_f16_sdwa v3, v138, v3 dst_sel:DWORD dst_unused:UNUSED_PAD src0_sel:WORD_1 src1_sel:DWORD
	v_cndmask_b32_e32 v18, v22, v18, vcc_lo
	v_cmp_eq_u32_e32 vcc_lo, 0x40f, v17
	v_lshrrev_b32_e32 v17, v20, v24
	v_cvt_f64_f32_e32 v[7:8], v8
	v_fma_f16 v3, v138, v19, -v3
	v_and_b32_e32 v15, 7, v18
	v_cndmask_b32_e32 v9, v21, v9, vcc_lo
	v_lshlrev_b32_e32 v20, v20, v17
	v_add_nc_u32_e32 v19, 0xfffffc10, v23
	v_cvt_f32_f16_e32 v3, v3
	v_cmp_lt_i32_e32 vcc_lo, 5, v15
	v_and_or_b32 v21, 0x8000, v10, v9
	v_cmp_ne_u32_e64 s0, v20, v24
	v_lshl_or_b32 v1, v21, 16, v1
	v_cndmask_b32_e64 v9, 0, 1, s0
	v_cmp_eq_u32_e64 s0, 3, v15
	v_lshrrev_b32_e32 v15, 2, v18
	v_lshl_or_b32 v18, v19, 12, v13
	v_or_b32_e32 v17, v17, v9
	s_or_b32 vcc_lo, s0, vcc_lo
	v_cvt_f64_f32_e32 v[9:10], v3
	v_add_co_ci_u32_e32 v3, vcc_lo, 0, v15, vcc_lo
	v_cmp_ne_u32_e32 vcc_lo, 0, v11
	v_mul_f64 v[7:8], v[7:8], s[6:7]
	v_cndmask_b32_e64 v11, 0, 1, vcc_lo
	v_cmp_gt_i32_e32 vcc_lo, 1, v19
	v_lshl_or_b32 v11, v11, 9, 0x7c00
	v_cndmask_b32_e32 v15, v18, v17, vcc_lo
	v_cmp_gt_i32_e32 vcc_lo, 31, v16
	v_and_b32_e32 v17, 7, v15
	v_cndmask_b32_e32 v3, 0x7c00, v3, vcc_lo
	v_add_co_u32 v5, vcc_lo, v5, s5
	v_add_co_ci_u32_e32 v6, vcc_lo, s4, v6, vcc_lo
	v_cmp_eq_u32_e32 vcc_lo, 0x40f, v16
	v_cmp_eq_u32_e64 s0, 3, v17
	v_mul_f64 v[9:10], v[9:10], s[6:7]
	v_and_or_b32 v7, 0x1ff, v8, v7
	v_lshrrev_b32_e32 v16, 16, v2
	v_cndmask_b32_e32 v3, v3, v11, vcc_lo
	v_cmp_lt_i32_e32 vcc_lo, 5, v17
	v_lshrrev_b32_e32 v11, 2, v15
	v_lshrrev_b32_e32 v15, 16, v12
	v_lshrrev_b32_e32 v12, 8, v8
	v_bfe_u32 v17, v8, 20, 11
	s_or_b32 vcc_lo, s0, vcc_lo
	v_mul_f16_sdwa v18, v137, v16 dst_sel:DWORD dst_unused:UNUSED_PAD src0_sel:WORD_1 src1_sel:DWORD
	v_add_co_ci_u32_e32 v11, vcc_lo, 0, v11, vcc_lo
	v_cmp_ne_u32_e32 vcc_lo, 0, v7
	v_and_or_b32 v3, 0x8000, v15, v3
	v_fmac_f16_e32 v18, v137, v2
	global_store_dword v[5:6], v1, off
	v_mul_f16_sdwa v2, v137, v2 dst_sel:DWORD dst_unused:UNUSED_PAD src0_sel:WORD_1 src1_sel:DWORD
	v_cndmask_b32_e64 v7, 0, 1, vcc_lo
	v_cmp_ne_u32_e32 vcc_lo, 0, v13
	v_and_b32_e32 v3, 0xffff, v3
	v_and_or_b32 v9, 0x1ff, v10, v9
	v_and_or_b32 v7, 0xffe, v12, v7
	v_cndmask_b32_e64 v13, 0, 1, vcc_lo
	v_cmp_gt_i32_e32 vcc_lo, 31, v19
	v_sub_nc_u32_e32 v12, 0x3f1, v17
	v_bfe_u32 v22, v10, 20, 11
	v_or_b32_e32 v20, 0x1000, v7
	v_lshl_or_b32 v13, v13, 9, 0x7c00
	v_cndmask_b32_e32 v11, 0x7c00, v11, vcc_lo
	v_cmp_eq_u32_e32 vcc_lo, 0x40f, v19
	v_med3_i32 v21, v12, 0, 13
	v_cvt_f32_f16_e32 v12, v18
	v_lshrrev_b32_e32 v19, 8, v10
	v_add_nc_u32_e32 v17, 0xfffffc10, v17
	v_cndmask_b32_e32 v13, v11, v13, vcc_lo
	v_cmp_ne_u32_e32 vcc_lo, 0, v9
	v_cvt_f64_f32_e32 v[11:12], v12
	v_lshrrev_b32_e32 v18, v21, v20
	v_fma_f16 v2, v137, v16, -v2
	v_and_or_b32 v13, 0x8000, v14, v13
	v_cndmask_b32_e64 v9, 0, 1, vcc_lo
	v_sub_nc_u32_e32 v14, 0x3f1, v22
	v_lshlrev_b32_e32 v21, v21, v18
	v_add_nc_u32_e32 v16, 0xfffffc10, v22
	v_lshl_or_b32 v3, v13, 16, v3
	v_and_or_b32 v9, 0xffe, v19, v9
	v_med3_i32 v14, v14, 0, 13
	v_cmp_ne_u32_e32 vcc_lo, v21, v20
	v_cvt_f32_f16_e32 v2, v2
	v_cmp_gt_i32_e64 s1, 1, v16
	v_or_b32_e32 v19, 0x1000, v9
	v_cndmask_b32_e64 v15, 0, 1, vcc_lo
	v_cmp_gt_i32_e32 vcc_lo, 1, v17
	v_lshrrev_b32_e32 v1, v14, v19
	v_or_b32_e32 v15, v18, v15
	v_lshl_or_b32 v18, v17, 12, v7
	v_mul_f64 v[11:12], v[11:12], s[6:7]
	v_lshlrev_b32_e32 v14, v14, v1
	v_cndmask_b32_e32 v13, v18, v15, vcc_lo
	v_add_co_u32 v5, vcc_lo, v5, s3
	v_add_co_ci_u32_e32 v6, vcc_lo, s2, v6, vcc_lo
	v_cmp_ne_u32_e32 vcc_lo, v14, v19
	v_and_b32_e32 v15, 7, v13
	v_add_nc_u32_e32 v19, 0xc00, v125
	global_store_dword v[5:6], v3, off
	v_lshl_or_b32 v3, v16, 12, v9
	v_cndmask_b32_e64 v14, 0, 1, vcc_lo
	v_cmp_lt_i32_e32 vcc_lo, 5, v15
	v_cmp_eq_u32_e64 s0, 3, v15
	v_lshrrev_b32_e32 v15, 2, v13
	v_or_b32_e32 v1, v1, v14
	v_cvt_f64_f32_e32 v[13:14], v2
	s_or_b32 vcc_lo, s0, vcc_lo
	v_lshrrev_b32_e32 v2, 8, v12
	v_bfe_u32 v18, v12, 20, 11
	v_cndmask_b32_e64 v3, v3, v1, s1
	v_and_or_b32 v1, 0x1ff, v12, v11
	v_add_co_ci_u32_e32 v11, vcc_lo, 0, v15, vcc_lo
	v_sub_nc_u32_e32 v21, 0x3f1, v18
	v_and_b32_e32 v15, 7, v3
	v_cmp_ne_u32_e32 vcc_lo, 0, v1
	v_lshrrev_b32_e32 v3, 2, v3
	v_cmp_gt_i32_e64 s1, 31, v17
	v_cmp_eq_u32_e64 s0, 3, v15
	v_cndmask_b32_e64 v1, 0, 1, vcc_lo
	v_cmp_ne_u32_e32 vcc_lo, 0, v7
	v_cndmask_b32_e64 v11, 0x7c00, v11, s1
	v_and_or_b32 v20, 0xffe, v2, v1
	ds_read2_b32 v[1:2], v19 offset0:114 offset1:177
	v_cndmask_b32_e64 v7, 0, 1, vcc_lo
	v_cmp_lt_i32_e32 vcc_lo, 5, v15
	v_mul_f64 v[13:14], v[13:14], s[6:7]
	v_or_b32_e32 v15, 0x1000, v20
	v_med3_i32 v19, v21, 0, 13
	v_lshl_or_b32 v7, v7, 9, 0x7c00
	s_or_b32 vcc_lo, s0, vcc_lo
	v_add_co_ci_u32_e32 v3, vcc_lo, 0, v3, vcc_lo
	v_cmp_eq_u32_e32 vcc_lo, 0x40f, v17
	v_lshrrev_b32_e32 v21, v19, v15
	v_lshrrev_b32_e32 v17, 16, v8
	v_cndmask_b32_e32 v11, v11, v7, vcc_lo
	v_cmp_gt_i32_e32 vcc_lo, 31, v16
	v_lshlrev_b32_e32 v7, v19, v21
	s_waitcnt lgkmcnt(0)
	v_lshrrev_b32_e32 v19, 16, v1
	v_and_or_b32 v11, 0x8000, v17, v11
	v_cndmask_b32_e32 v3, 0x7c00, v3, vcc_lo
	v_cmp_ne_u32_e32 vcc_lo, 0, v9
	v_mul_f16_sdwa v9, v136, v19 dst_sel:DWORD dst_unused:UNUSED_PAD src0_sel:WORD_1 src1_sel:DWORD
	v_and_or_b32 v13, 0x1ff, v14, v13
	v_bfe_u32 v22, v14, 20, 11
	v_cndmask_b32_e64 v8, 0, 1, vcc_lo
	v_cmp_ne_u32_e32 vcc_lo, v7, v15
	v_add_nc_u32_e32 v15, 0xfffffc10, v18
	v_fmac_f16_e32 v9, v136, v1
	v_mul_f16_sdwa v1, v136, v1 dst_sel:DWORD dst_unused:UNUSED_PAD src0_sel:WORD_1 src1_sel:DWORD
	v_lshl_or_b32 v18, v8, 9, 0x7c00
	v_cndmask_b32_e64 v7, 0, 1, vcc_lo
	v_cmp_ne_u32_e32 vcc_lo, 0, v13
	v_lshl_or_b32 v8, v15, 12, v20
	v_cvt_f32_f16_e32 v9, v9
	v_fma_f16 v1, v136, v19, -v1
	v_or_b32_e32 v7, v21, v7
	v_cndmask_b32_e64 v13, 0, 1, vcc_lo
	v_cmp_gt_i32_e32 vcc_lo, 1, v15
	v_lshrrev_b32_e32 v21, 8, v14
	v_cvt_f32_f16_e32 v1, v1
	v_add_nc_u32_e32 v19, 0xfffffc10, v22
	v_and_b32_e32 v11, 0xffff, v11
	v_cndmask_b32_e32 v23, v8, v7, vcc_lo
	v_cvt_f64_f32_e32 v[7:8], v9
	v_and_or_b32 v13, 0xffe, v21, v13
	v_sub_nc_u32_e32 v21, 0x3f1, v22
	v_cmp_eq_u32_e32 vcc_lo, 0x40f, v16
	v_lshrrev_b32_e32 v9, 16, v10
	v_and_b32_e32 v10, 7, v23
	v_or_b32_e32 v16, 0x1000, v13
	v_lshrrev_b32_e32 v14, 16, v14
	v_cndmask_b32_e32 v3, v3, v18, vcc_lo
	v_med3_i32 v18, v21, 0, 13
	v_cmp_lt_i32_e32 vcc_lo, 5, v10
	v_cmp_eq_u32_e64 s0, 3, v10
	v_and_or_b32 v3, 0x8000, v9, v3
	v_lshrrev_b32_e32 v17, v18, v16
	v_lshrrev_b32_e32 v9, 2, v23
	s_or_b32 vcc_lo, s0, vcc_lo
	v_lshl_or_b32 v3, v3, 16, v11
	v_lshlrev_b32_e32 v10, v18, v17
	v_add_co_ci_u32_e32 v18, vcc_lo, 0, v9, vcc_lo
	v_mul_f64 v[7:8], v[7:8], s[6:7]
	v_lshrrev_b32_e32 v11, 16, v12
	v_cmp_ne_u32_e32 vcc_lo, v10, v16
	v_cvt_f64_f32_e32 v[9:10], v1
	v_cndmask_b32_e64 v16, 0, 1, vcc_lo
	v_cmp_ne_u32_e32 vcc_lo, 0, v20
	v_or_b32_e32 v16, v17, v16
	v_cndmask_b32_e64 v1, 0, 1, vcc_lo
	v_cmp_gt_i32_e32 vcc_lo, 31, v15
	v_lshl_or_b32 v17, v19, 12, v13
	v_lshl_or_b32 v1, v1, 9, 0x7c00
	v_cndmask_b32_e32 v18, 0x7c00, v18, vcc_lo
	v_cmp_gt_i32_e32 vcc_lo, 1, v19
	v_and_or_b32 v7, 0x1ff, v8, v7
	v_cndmask_b32_e32 v16, v17, v16, vcc_lo
	v_cmp_eq_u32_e32 vcc_lo, 0x40f, v15
	v_mul_f64 v[9:10], v[9:10], s[6:7]
	v_cmp_ne_u32_e64 s1, 0, v7
	v_bfe_u32 v15, v8, 20, 11
	v_and_b32_e32 v12, 7, v16
	v_cndmask_b32_e32 v1, v18, v1, vcc_lo
	v_add_co_u32 v5, vcc_lo, v5, s3
	v_add_co_ci_u32_e32 v6, vcc_lo, s2, v6, vcc_lo
	v_cmp_lt_i32_e32 vcc_lo, 5, v12
	v_cmp_eq_u32_e64 s0, 3, v12
	v_and_or_b32 v1, 0x8000, v11, v1
	v_lshrrev_b32_e32 v11, 2, v16
	v_cndmask_b32_e64 v7, 0, 1, s1
	v_lshrrev_b32_e32 v12, 8, v8
	s_or_b32 vcc_lo, s0, vcc_lo
	v_lshrrev_b32_e32 v16, 16, v4
	v_add_co_ci_u32_e32 v11, vcc_lo, 0, v11, vcc_lo
	v_and_or_b32 v7, 0xffe, v12, v7
	v_sub_nc_u32_e32 v12, 0x3f1, v15
	v_cmp_ne_u32_e32 vcc_lo, 0, v13
	v_mul_f16_sdwa v18, v135, v16 dst_sel:DWORD dst_unused:UNUSED_PAD src0_sel:WORD_1 src1_sel:DWORD
	v_and_or_b32 v9, 0x1ff, v10, v9
	v_or_b32_e32 v17, 0x1000, v7
	v_med3_i32 v12, v12, 0, 13
	v_cndmask_b32_e64 v13, 0, 1, vcc_lo
	v_cmp_gt_i32_e32 vcc_lo, 31, v19
	v_fmac_f16_e32 v18, v135, v4
	v_bfe_u32 v21, v10, 20, 11
	v_lshrrev_b32_e32 v20, v12, v17
	v_lshl_or_b32 v13, v13, 9, 0x7c00
	v_cndmask_b32_e32 v11, 0x7c00, v11, vcc_lo
	v_cmp_eq_u32_e32 vcc_lo, 0x40f, v19
	v_lshrrev_b32_e32 v19, 8, v10
	v_add_nc_u32_e32 v15, 0xfffffc10, v15
	v_mul_f16_sdwa v4, v135, v4 dst_sel:DWORD dst_unused:UNUSED_PAD src0_sel:WORD_1 src1_sel:DWORD
	v_and_b32_e32 v1, 0xffff, v1
	v_cndmask_b32_e32 v13, v11, v13, vcc_lo
	v_cvt_f32_f16_e32 v11, v18
	v_lshlrev_b32_e32 v18, v12, v20
	v_cmp_ne_u32_e32 vcc_lo, 0, v9
	global_store_dword v[5:6], v3, off
	v_and_or_b32 v13, 0x8000, v14, v13
	v_cvt_f64_f32_e32 v[11:12], v11
	v_fma_f16 v3, v135, v16, -v4
	v_cndmask_b32_e64 v9, 0, 1, vcc_lo
	v_cmp_ne_u32_e32 vcc_lo, v18, v17
	v_sub_nc_u32_e32 v18, 0x3f1, v21
	v_lshl_or_b32 v1, v13, 16, v1
	v_cvt_f32_f16_e32 v3, v3
	v_and_or_b32 v9, 0xffe, v19, v9
	v_cndmask_b32_e64 v17, 0, 1, vcc_lo
	v_med3_i32 v18, v18, 0, 13
	v_cmp_gt_i32_e32 vcc_lo, 1, v15
	v_cvt_f64_f32_e32 v[3:4], v3
	v_or_b32_e32 v19, 0x1000, v9
	v_or_b32_e32 v14, v20, v17
	v_lshl_or_b32 v17, v15, 12, v7
	v_lshrrev_b32_e32 v10, 16, v10
	v_cndmask_b32_e32 v14, v17, v14, vcc_lo
	v_lshrrev_b32_e32 v17, v18, v19
	v_add_co_u32 v5, vcc_lo, v5, s5
	v_mul_f64 v[11:12], v[11:12], s[6:7]
	v_and_b32_e32 v13, 7, v14
	v_lshlrev_b32_e32 v16, v18, v17
	v_add_co_ci_u32_e32 v6, vcc_lo, s4, v6, vcc_lo
	v_add_nc_u32_e32 v18, 0xfffffc10, v21
	v_cmp_lt_i32_e32 vcc_lo, 5, v13
	v_cmp_ne_u32_e64 s0, v16, v19
	global_store_dword v[5:6], v1, off
	v_lshrrev_b32_e32 v1, 2, v14
	v_lshl_or_b32 v14, v18, 12, v9
	v_cndmask_b32_e64 v16, 0, 1, s0
	v_cmp_eq_u32_e64 s0, 3, v13
	v_or_b32_e32 v13, v17, v16
	s_or_b32 vcc_lo, s0, vcc_lo
	v_add_nc_u32_e32 v17, 0x400, v125
	v_add_co_ci_u32_e32 v1, vcc_lo, 0, v1, vcc_lo
	v_cmp_ne_u32_e32 vcc_lo, 0, v7
	v_and_or_b32 v11, 0x1ff, v12, v11
	v_bfe_u32 v20, v12, 20, 11
	v_cndmask_b32_e64 v7, 0, 1, vcc_lo
	v_cmp_gt_i32_e32 vcc_lo, 1, v18
	v_lshl_or_b32 v7, v7, 9, 0x7c00
	v_cndmask_b32_e32 v16, v14, v13, vcc_lo
	v_cmp_gt_i32_e32 vcc_lo, 31, v15
	v_mul_f64 v[13:14], v[3:4], s[6:7]
	ds_read2_b32 v[3:4], v17 offset0:122 offset1:185
	v_lshrrev_b32_e32 v17, 8, v12
	v_and_b32_e32 v19, 7, v16
	v_cndmask_b32_e32 v1, 0x7c00, v1, vcc_lo
	v_cmp_ne_u32_e32 vcc_lo, 0, v11
	v_cmp_eq_u32_e64 s0, 3, v19
	v_cndmask_b32_e64 v11, 0, 1, vcc_lo
	v_cmp_eq_u32_e32 vcc_lo, 0x40f, v15
	v_lshrrev_b32_e32 v15, 16, v8
	v_lshrrev_b32_e32 v8, 2, v16
	v_and_or_b32 v11, 0xffe, v17, v11
	v_cndmask_b32_e32 v1, v1, v7, vcc_lo
	v_cmp_lt_i32_e32 vcc_lo, 5, v19
	v_sub_nc_u32_e32 v7, 0x3f1, v20
	v_or_b32_e32 v16, 0x1000, v11
	s_waitcnt lgkmcnt(0)
	v_lshrrev_b32_e32 v19, 16, v3
	s_or_b32 vcc_lo, s0, vcc_lo
	v_med3_i32 v7, v7, 0, 13
	v_add_co_ci_u32_e32 v8, vcc_lo, 0, v8, vcc_lo
	v_cmp_ne_u32_e32 vcc_lo, 0, v9
	v_and_or_b32 v13, 0x1ff, v14, v13
	v_lshrrev_b32_e32 v17, v7, v16
	v_lshrrev_b32_e32 v22, 8, v14
	v_bfe_u32 v23, v14, 20, 11
	v_cndmask_b32_e64 v9, 0, 1, vcc_lo
	v_cmp_gt_i32_e32 vcc_lo, 31, v18
	v_lshlrev_b32_e32 v7, v7, v17
	v_and_or_b32 v1, 0x8000, v15, v1
	v_lshrrev_b32_e32 v14, 16, v14
	v_lshl_or_b32 v9, v9, 9, 0x7c00
	v_cndmask_b32_e32 v21, 0x7c00, v8, vcc_lo
	v_mul_f16_sdwa v8, v134, v19 dst_sel:DWORD dst_unused:UNUSED_PAD src0_sel:WORD_1 src1_sel:DWORD
	v_cmp_ne_u32_e32 vcc_lo, 0, v13
	v_and_b32_e32 v1, 0xffff, v1
	v_fmac_f16_e32 v8, v134, v3
	v_cndmask_b32_e64 v13, 0, 1, vcc_lo
	v_cmp_ne_u32_e32 vcc_lo, v7, v16
	v_add_nc_u32_e32 v16, 0xfffffc10, v20
	v_sub_nc_u32_e32 v20, 0x3f1, v23
	v_cvt_f32_f16_e32 v8, v8
	v_and_or_b32 v13, 0xffe, v22, v13
	v_cndmask_b32_e64 v7, 0, 1, vcc_lo
	v_lshl_or_b32 v22, v16, 12, v11
	v_med3_i32 v20, v20, 0, 13
	v_cmp_gt_i32_e32 vcc_lo, 1, v16
	v_or_b32_e32 v24, 0x1000, v13
	v_or_b32_e32 v17, v17, v7
	v_cvt_f64_f32_e32 v[7:8], v8
	v_mul_f16_sdwa v3, v134, v3 dst_sel:DWORD dst_unused:UNUSED_PAD src0_sel:WORD_1 src1_sel:DWORD
	v_cndmask_b32_e32 v17, v22, v17, vcc_lo
	v_cmp_eq_u32_e32 vcc_lo, 0x40f, v18
	v_lshrrev_b32_e32 v18, v20, v24
	v_fma_f16 v3, v134, v19, -v3
	v_add_nc_u32_e32 v19, 0xfffffc10, v23
	v_and_b32_e32 v15, 7, v17
	v_cndmask_b32_e32 v9, v21, v9, vcc_lo
	v_lshlrev_b32_e32 v20, v20, v18
	v_cvt_f32_f16_e32 v3, v3
	v_cmp_lt_i32_e32 vcc_lo, 5, v15
	v_and_or_b32 v21, 0x8000, v10, v9
	v_cmp_ne_u32_e64 s0, v20, v24
	v_lshl_or_b32 v1, v21, 16, v1
	v_cndmask_b32_e64 v9, 0, 1, s0
	v_cmp_eq_u32_e64 s0, 3, v15
	v_lshrrev_b32_e32 v15, 2, v17
	v_mul_f64 v[7:8], v[7:8], s[6:7]
	v_or_b32_e32 v17, v18, v9
	v_cvt_f64_f32_e32 v[9:10], v3
	s_or_b32 vcc_lo, s0, vcc_lo
	v_lshl_or_b32 v18, v19, 12, v13
	v_add_co_ci_u32_e32 v3, vcc_lo, 0, v15, vcc_lo
	v_cmp_ne_u32_e32 vcc_lo, 0, v11
	v_cndmask_b32_e64 v11, 0, 1, vcc_lo
	v_cmp_gt_i32_e32 vcc_lo, 1, v19
	v_lshl_or_b32 v11, v11, 9, 0x7c00
	v_cndmask_b32_e32 v15, v18, v17, vcc_lo
	v_cmp_gt_i32_e32 vcc_lo, 31, v16
	v_and_or_b32 v7, 0x1ff, v8, v7
	v_and_b32_e32 v17, 7, v15
	v_cndmask_b32_e32 v3, 0x7c00, v3, vcc_lo
	v_add_co_u32 v5, vcc_lo, v5, s3
	v_add_co_ci_u32_e32 v6, vcc_lo, s2, v6, vcc_lo
	v_cmp_eq_u32_e32 vcc_lo, 0x40f, v16
	v_mul_f64 v[9:10], v[9:10], s[6:7]
	v_cmp_ne_u32_e64 s1, 0, v7
	v_cmp_eq_u32_e64 s0, 3, v17
	v_lshrrev_b32_e32 v16, 16, v12
	v_cndmask_b32_e32 v3, v3, v11, vcc_lo
	v_cmp_lt_i32_e32 vcc_lo, 5, v17
	v_lshrrev_b32_e32 v11, 2, v15
	v_lshrrev_b32_e32 v15, 16, v2
	v_cndmask_b32_e64 v7, 0, 1, s1
	v_lshrrev_b32_e32 v12, 8, v8
	v_bfe_u32 v17, v8, 20, 11
	s_or_b32 vcc_lo, s0, vcc_lo
	v_mul_f16_sdwa v18, v133, v15 dst_sel:DWORD dst_unused:UNUSED_PAD src0_sel:WORD_1 src1_sel:DWORD
	v_add_co_ci_u32_e32 v11, vcc_lo, 0, v11, vcc_lo
	v_and_or_b32 v7, 0xffe, v12, v7
	v_sub_nc_u32_e32 v12, 0x3f1, v17
	v_cmp_ne_u32_e32 vcc_lo, 0, v13
	v_fmac_f16_e32 v18, v133, v2
	v_and_or_b32 v3, 0x8000, v16, v3
	v_or_b32_e32 v20, 0x1000, v7
	v_med3_i32 v21, v12, 0, 13
	v_cndmask_b32_e64 v13, 0, 1, vcc_lo
	v_cmp_gt_i32_e32 vcc_lo, 31, v19
	v_cvt_f32_f16_e32 v12, v18
	v_and_or_b32 v9, 0x1ff, v10, v9
	v_lshrrev_b32_e32 v22, v21, v20
	v_lshl_or_b32 v13, v13, 9, 0x7c00
	v_cndmask_b32_e32 v18, 0x7c00, v11, vcc_lo
	v_cmp_eq_u32_e32 vcc_lo, 0x40f, v19
	v_cvt_f64_f32_e32 v[11:12], v12
	v_lshlrev_b32_e32 v16, v21, v22
	v_bfe_u32 v19, v10, 20, 11
	v_add_nc_u32_e32 v17, 0xfffffc10, v17
	v_cndmask_b32_e32 v13, v18, v13, vcc_lo
	v_cmp_ne_u32_e32 vcc_lo, 0, v9
	v_lshrrev_b32_e32 v18, 8, v10
	v_mul_f16_sdwa v2, v133, v2 dst_sel:DWORD dst_unused:UNUSED_PAD src0_sel:WORD_1 src1_sel:DWORD
	v_and_b32_e32 v3, 0xffff, v3
	v_and_or_b32 v13, 0x8000, v14, v13
	v_cndmask_b32_e64 v9, 0, 1, vcc_lo
	v_cmp_ne_u32_e32 vcc_lo, v16, v20
	v_lshl_or_b32 v20, v17, 12, v7
	global_store_dword v[5:6], v1, off
	v_fma_f16 v1, v133, v15, -v2
	v_and_or_b32 v9, 0xffe, v18, v9
	v_cndmask_b32_e64 v16, 0, 1, vcc_lo
	v_sub_nc_u32_e32 v18, 0x3f1, v19
	v_cmp_gt_i32_e32 vcc_lo, 1, v17
	v_lshl_or_b32 v15, v13, 16, v3
	v_or_b32_e32 v14, 0x1000, v9
	v_or_b32_e32 v16, v22, v16
	v_med3_i32 v18, v18, 0, 13
	v_mul_f64 v[11:12], v[11:12], s[6:7]
	v_cvt_f32_f16_e32 v1, v1
	v_lshrrev_b32_e32 v10, 16, v10
	v_cndmask_b32_e32 v16, v20, v16, vcc_lo
	v_lshrrev_b32_e32 v20, v18, v14
	v_and_b32_e32 v21, 7, v16
	v_lshlrev_b32_e32 v2, v18, v20
	v_lshrrev_b32_e32 v3, 2, v16
	v_add_nc_u32_e32 v16, 0xfffffc10, v19
	v_add_nc_u32_e32 v18, 0x1600, v125
	v_cmp_lt_i32_e32 vcc_lo, 5, v21
	v_cmp_eq_u32_e64 s0, 3, v21
	v_cmp_ne_u32_e64 s1, v2, v14
	v_cvt_f64_f32_e32 v[13:14], v1
	s_or_b32 vcc_lo, s0, vcc_lo
	v_cndmask_b32_e64 v2, 0, 1, s1
	v_add_co_ci_u32_e32 v1, vcc_lo, 0, v3, vcc_lo
	v_cmp_ne_u32_e32 vcc_lo, 0, v7
	v_lshl_or_b32 v3, v16, 12, v9
	v_or_b32_e32 v2, v20, v2
	v_and_or_b32 v11, 0x1ff, v12, v11
	v_bfe_u32 v20, v12, 20, 11
	v_cndmask_b32_e64 v7, 0, 1, vcc_lo
	v_cmp_gt_i32_e32 vcc_lo, 1, v16
	v_lshl_or_b32 v7, v7, 9, 0x7c00
	v_cndmask_b32_e32 v19, v3, v2, vcc_lo
	v_cmp_ne_u32_e32 vcc_lo, 0, v11
	ds_read2_b32 v[2:3], v18 offset0:104 offset1:167
	v_lshrrev_b32_e32 v18, 8, v12
	v_mul_f64 v[13:14], v[13:14], s[6:7]
	v_and_b32_e32 v21, 7, v19
	v_cndmask_b32_e64 v11, 0, 1, vcc_lo
	v_cmp_gt_i32_e32 vcc_lo, 31, v17
	v_lshrrev_b32_e32 v12, 16, v12
	v_cmp_eq_u32_e64 s0, 3, v21
	v_and_or_b32 v11, 0xffe, v18, v11
	v_cndmask_b32_e32 v1, 0x7c00, v1, vcc_lo
	v_cmp_eq_u32_e32 vcc_lo, 0x40f, v17
	v_sub_nc_u32_e32 v18, 0x3f1, v20
	v_cndmask_b32_e32 v1, v1, v7, vcc_lo
	v_lshrrev_b32_e32 v7, 16, v8
	v_cmp_lt_i32_e32 vcc_lo, 5, v21
	v_or_b32_e32 v8, 0x1000, v11
	v_med3_i32 v17, v18, 0, 13
	s_waitcnt lgkmcnt(0)
	v_lshrrev_b32_e32 v18, 16, v2
	v_and_or_b32 v1, 0x8000, v7, v1
	v_lshrrev_b32_e32 v7, 2, v19
	s_or_b32 vcc_lo, s0, vcc_lo
	v_lshrrev_b32_e32 v19, v17, v8
	v_mul_f16_sdwa v21, v132, v18 dst_sel:DWORD dst_unused:UNUSED_PAD src0_sel:WORD_1 src1_sel:DWORD
	v_bfe_u32 v23, v14, 20, 11
	v_add_co_ci_u32_e32 v7, vcc_lo, 0, v7, vcc_lo
	v_cmp_ne_u32_e32 vcc_lo, 0, v9
	v_lshlrev_b32_e32 v17, v17, v19
	v_fmac_f16_e32 v21, v132, v2
	v_and_b32_e32 v1, 0xffff, v1
	v_mul_f16_sdwa v2, v132, v2 dst_sel:DWORD dst_unused:UNUSED_PAD src0_sel:WORD_1 src1_sel:DWORD
	v_cndmask_b32_e64 v9, 0, 1, vcc_lo
	v_cmp_gt_i32_e32 vcc_lo, 31, v16
	v_lshl_or_b32 v9, v9, 9, 0x7c00
	v_cndmask_b32_e32 v22, 0x7c00, v7, vcc_lo
	v_and_or_b32 v7, 0x1ff, v14, v13
	v_cmp_ne_u32_e32 vcc_lo, v17, v8
	v_cvt_f32_f16_e32 v8, v21
	v_add_nc_u32_e32 v17, 0xfffffc10, v20
	v_lshrrev_b32_e32 v21, 8, v14
	v_lshrrev_b32_e32 v14, 16, v14
	v_cndmask_b32_e64 v13, 0, 1, vcc_lo
	v_cmp_ne_u32_e32 vcc_lo, 0, v7
	v_cvt_f64_f32_e32 v[7:8], v8
	v_or_b32_e32 v13, v19, v13
	v_cndmask_b32_e64 v20, 0, 1, vcc_lo
	v_cmp_eq_u32_e32 vcc_lo, 0x40f, v16
	v_lshl_or_b32 v16, v17, 12, v11
	v_and_or_b32 v19, 0xffe, v21, v20
	v_cndmask_b32_e32 v9, v22, v9, vcc_lo
	v_sub_nc_u32_e32 v20, 0x3f1, v23
	v_cmp_gt_i32_e32 vcc_lo, 1, v17
	v_and_or_b32 v9, 0x8000, v10, v9
	v_med3_i32 v20, v20, 0, 13
	v_cndmask_b32_e32 v13, v16, v13, vcc_lo
	v_or_b32_e32 v16, 0x1000, v19
	v_add_co_u32 v5, vcc_lo, v5, s3
	v_add_co_ci_u32_e32 v6, vcc_lo, s2, v6, vcc_lo
	v_lshrrev_b32_e32 v10, v20, v16
	v_and_b32_e32 v21, 7, v13
	v_mul_f64 v[7:8], v[7:8], s[6:7]
	v_lshl_or_b32 v22, v9, 16, v1
	v_fma_f16 v1, v132, v18, -v2
	v_lshlrev_b32_e32 v20, v20, v10
	v_cmp_lt_i32_e32 vcc_lo, 5, v21
	v_lshrrev_b32_e32 v9, 2, v13
	global_store_dword v[5:6], v15, off
	v_cvt_f32_f16_e32 v1, v1
	v_cmp_ne_u32_e64 s0, v20, v16
	v_add_nc_u32_e32 v15, 0xfffffc10, v23
	v_cndmask_b32_e64 v2, 0, 1, s0
	v_cmp_eq_u32_e64 s0, 3, v21
	v_lshl_or_b32 v13, v15, 12, v19
	v_or_b32_e32 v10, v10, v2
	s_or_b32 vcc_lo, s0, vcc_lo
	v_cvt_f64_f32_e32 v[1:2], v1
	v_add_co_ci_u32_e32 v9, vcc_lo, 0, v9, vcc_lo
	v_cmp_ne_u32_e32 vcc_lo, 0, v11
	v_and_or_b32 v7, 0x1ff, v8, v7
	v_lshrrev_b32_e32 v16, 8, v8
	v_bfe_u32 v18, v8, 20, 11
	v_cndmask_b32_e64 v11, 0, 1, vcc_lo
	v_cmp_gt_i32_e32 vcc_lo, 1, v15
	v_cndmask_b32_e32 v13, v13, v10, vcc_lo
	v_cmp_gt_i32_e32 vcc_lo, 31, v17
	v_lshl_or_b32 v10, v11, 9, 0x7c00
	v_and_b32_e32 v11, 7, v13
	v_cndmask_b32_e32 v9, 0x7c00, v9, vcc_lo
	v_cmp_ne_u32_e32 vcc_lo, 0, v7
	v_cmp_eq_u32_e64 s0, 3, v11
	v_cndmask_b32_e64 v7, 0, 1, vcc_lo
	v_cmp_eq_u32_e32 vcc_lo, 0x40f, v17
	v_and_or_b32 v7, 0xffe, v16, v7
	v_cndmask_b32_e32 v17, v9, v10, vcc_lo
	v_cmp_lt_i32_e32 vcc_lo, 5, v11
	v_mul_f64 v[9:10], v[1:2], s[6:7]
	v_lshrrev_b32_e32 v1, 2, v13
	v_sub_nc_u32_e32 v16, 0x3f1, v18
	v_or_b32_e32 v2, 0x1000, v7
	s_or_b32 vcc_lo, s0, vcc_lo
	v_and_or_b32 v12, 0x8000, v12, v17
	v_add_co_ci_u32_e32 v1, vcc_lo, 0, v1, vcc_lo
	v_med3_i32 v11, v16, 0, 13
	v_cmp_ne_u32_e32 vcc_lo, 0, v19
	v_lshrrev_b32_e32 v16, 16, v4
	v_add_nc_u32_e32 v17, 0xfffffc10, v18
	v_and_b32_e32 v12, 0xffff, v12
	v_lshrrev_b32_e32 v19, v11, v2
	v_cndmask_b32_e64 v13, 0, 1, vcc_lo
	v_cmp_gt_i32_e32 vcc_lo, 31, v15
	v_mul_f16_sdwa v20, v131, v16 dst_sel:DWORD dst_unused:UNUSED_PAD src0_sel:WORD_1 src1_sel:DWORD
	v_lshlrev_b32_e32 v11, v11, v19
	v_lshl_or_b32 v13, v13, 9, 0x7c00
	v_cndmask_b32_e32 v1, 0x7c00, v1, vcc_lo
	v_cmp_eq_u32_e32 vcc_lo, 0x40f, v15
	v_fmac_f16_e32 v20, v131, v4
	v_and_or_b32 v9, 0x1ff, v10, v9
	v_lshrrev_b32_e32 v15, 8, v10
	v_bfe_u32 v18, v10, 20, 11
	v_cndmask_b32_e32 v13, v1, v13, vcc_lo
	v_cmp_ne_u32_e32 vcc_lo, v11, v2
	v_cvt_f32_f16_e32 v1, v20
	v_lshrrev_b32_e32 v10, 16, v10
	v_and_or_b32 v13, 0x8000, v14, v13
	v_cndmask_b32_e64 v11, 0, 1, vcc_lo
	v_cmp_ne_u32_e32 vcc_lo, 0, v9
	v_cvt_f64_f32_e32 v[1:2], v1
	v_lshl_or_b32 v14, v17, 12, v7
	v_lshl_or_b32 v21, v13, 16, v12
	v_or_b32_e32 v11, v19, v11
	v_cndmask_b32_e64 v9, 0, 1, vcc_lo
	v_cmp_gt_i32_e32 vcc_lo, 1, v17
	v_and_or_b32 v9, 0xffe, v15, v9
	v_sub_nc_u32_e32 v15, 0x3f1, v18
	v_cndmask_b32_e32 v19, v14, v11, vcc_lo
	v_add_co_u32 v5, vcc_lo, v5, s5
	v_or_b32_e32 v20, 0x1000, v9
	v_med3_i32 v15, v15, 0, 13
	v_add_co_ci_u32_e32 v6, vcc_lo, s4, v6, vcc_lo
	v_and_b32_e32 v23, 7, v19
	v_add_co_u32 v13, vcc_lo, v5, s3
	v_lshrrev_b32_e32 v24, v15, v20
	v_mul_f64 v[11:12], v[1:2], s[6:7]
	v_mul_f16_sdwa v1, v131, v4 dst_sel:DWORD dst_unused:UNUSED_PAD src0_sel:WORD_1 src1_sel:DWORD
	v_add_co_ci_u32_e32 v14, vcc_lo, s2, v6, vcc_lo
	v_lshlrev_b32_e32 v2, v15, v24
	v_cmp_lt_i32_e32 vcc_lo, 5, v23
	v_cmp_eq_u32_e64 s0, 3, v23
	v_fma_f16 v1, v131, v16, -v1
	v_lshrrev_b32_e32 v4, 2, v19
	v_cmp_ne_u32_e64 s1, v2, v20
	v_add_nc_u32_e32 v18, 0xfffffc10, v18
	s_or_b32 vcc_lo, s0, vcc_lo
	v_cvt_f32_f16_e32 v1, v1
	v_add_co_ci_u32_e32 v4, vcc_lo, 0, v4, vcc_lo
	v_cndmask_b32_e64 v2, 0, 1, s1
	v_cmp_ne_u32_e32 vcc_lo, 0, v7
	v_cvt_f64_f32_e32 v[15:16], v1
	v_lshl_or_b32 v19, v18, 12, v9
	v_add_nc_u32_e32 v1, 0xe00, v125
	v_or_b32_e32 v2, v24, v2
	v_cndmask_b32_e64 v7, 0, 1, vcc_lo
	v_cmp_gt_i32_e32 vcc_lo, 1, v18
	v_and_or_b32 v11, 0x1ff, v12, v11
	v_lshrrev_b32_e32 v23, 8, v12
	v_bfe_u32 v24, v12, 20, 11
	v_lshl_or_b32 v7, v7, 9, 0x7c00
	v_cndmask_b32_e32 v19, v19, v2, vcc_lo
	v_cmp_gt_i32_e32 vcc_lo, 31, v17
	ds_read2_b32 v[1:2], v1 offset0:112 offset1:175
	global_store_dword v[5:6], v22, off
	global_store_dword v[13:14], v21, off
	v_lshrrev_b32_e32 v12, 16, v12
	v_and_b32_e32 v20, 7, v19
	v_cndmask_b32_e32 v4, 0x7c00, v4, vcc_lo
	v_cmp_ne_u32_e32 vcc_lo, 0, v11
	v_cmp_eq_u32_e64 s0, 3, v20
	v_cndmask_b32_e64 v11, 0, 1, vcc_lo
	v_cmp_eq_u32_e32 vcc_lo, 0x40f, v17
	v_lshrrev_b32_e32 v17, 16, v8
	v_and_or_b32 v11, 0xffe, v23, v11
	v_cndmask_b32_e32 v4, v4, v7, vcc_lo
	v_cmp_lt_i32_e32 vcc_lo, 5, v20
	v_mul_f64 v[7:8], v[15:16], s[6:7]
	v_lshrrev_b32_e32 v15, 2, v19
	v_sub_nc_u32_e32 v23, 0x3f1, v24
	v_or_b32_e32 v16, 0x1000, v11
	s_or_b32 vcc_lo, s0, vcc_lo
	s_waitcnt lgkmcnt(0)
	v_lshrrev_b32_e32 v20, 16, v1
	v_add_co_ci_u32_e32 v15, vcc_lo, 0, v15, vcc_lo
	v_med3_i32 v19, v23, 0, 13
	v_cmp_ne_u32_e32 vcc_lo, 0, v9
	v_and_or_b32 v4, 0x8000, v17, v4
	v_mul_f16_sdwa v23, v130, v20 dst_sel:DWORD dst_unused:UNUSED_PAD src0_sel:WORD_1 src1_sel:DWORD
	v_lshrrev_b32_e32 v25, v19, v16
	v_cndmask_b32_e64 v9, 0, 1, vcc_lo
	v_cmp_gt_i32_e32 vcc_lo, 31, v18
	v_fmac_f16_e32 v23, v130, v1
	v_and_b32_e32 v4, 0xffff, v4
	v_lshlrev_b32_e32 v17, v19, v25
	v_lshl_or_b32 v9, v9, 9, 0x7c00
	v_cndmask_b32_e32 v15, 0x7c00, v15, vcc_lo
	v_cmp_eq_u32_e32 vcc_lo, 0x40f, v18
	v_and_or_b32 v7, 0x1ff, v8, v7
	v_add_nc_u32_e32 v18, 0xfffffc10, v24
	v_lshrrev_b32_e32 v19, 8, v8
	v_mul_f16_sdwa v1, v130, v1 dst_sel:DWORD dst_unused:UNUSED_PAD src0_sel:WORD_1 src1_sel:DWORD
	v_cndmask_b32_e32 v9, v15, v9, vcc_lo
	v_cmp_ne_u32_e32 vcc_lo, v17, v16
	v_cvt_f32_f16_e32 v15, v23
	v_bfe_u32 v23, v8, 20, 11
	v_lshl_or_b32 v24, v18, 12, v11
	v_and_or_b32 v9, 0x8000, v10, v9
	v_cndmask_b32_e64 v17, 0, 1, vcc_lo
	v_cmp_ne_u32_e32 vcc_lo, 0, v7
	v_cvt_f64_f32_e32 v[15:16], v15
	v_fma_f16 v1, v130, v20, -v1
	v_lshl_or_b32 v21, v9, 16, v4
	v_or_b32_e32 v17, v25, v17
	v_cndmask_b32_e64 v7, 0, 1, vcc_lo
	v_cmp_gt_i32_e32 vcc_lo, 1, v18
	v_cvt_f32_f16_e32 v1, v1
	v_lshrrev_b32_e32 v8, 16, v8
	v_and_or_b32 v19, 0xffe, v19, v7
	v_sub_nc_u32_e32 v7, 0x3f1, v23
	v_cndmask_b32_e32 v17, v24, v17, vcc_lo
	v_or_b32_e32 v10, 0x1000, v19
	v_med3_i32 v7, v7, 0, 13
	v_and_b32_e32 v24, 7, v17
	v_lshrrev_b32_e32 v9, 2, v17
	v_lshrrev_b32_e32 v6, v7, v10
	v_cmp_lt_i32_e32 vcc_lo, 5, v24
	v_cmp_eq_u32_e64 s0, 3, v24
	v_mul_f64 v[4:5], v[15:16], s[6:7]
	v_add_nc_u32_e32 v15, 0xfffffc10, v23
	v_lshlrev_b32_e32 v7, v7, v6
	s_or_b32 vcc_lo, s0, vcc_lo
	v_add_co_ci_u32_e32 v9, vcc_lo, 0, v9, vcc_lo
	v_cmp_ne_u32_e32 vcc_lo, v7, v10
	v_cndmask_b32_e64 v7, 0, 1, vcc_lo
	v_cmp_ne_u32_e32 vcc_lo, 0, v11
	v_or_b32_e32 v6, v6, v7
	v_cndmask_b32_e64 v10, 0, 1, vcc_lo
	v_cmp_gt_i32_e32 vcc_lo, 31, v18
	v_lshl_or_b32 v7, v15, 12, v19
	v_lshl_or_b32 v16, v10, 9, 0x7c00
	v_cndmask_b32_e32 v11, 0x7c00, v9, vcc_lo
	v_cmp_gt_i32_e32 vcc_lo, 1, v15
	v_cndmask_b32_e32 v17, v7, v6, vcc_lo
	v_cvt_f64_f32_e32 v[6:7], v1
	v_add_co_u32 v9, vcc_lo, v13, s3
	v_add_co_ci_u32_e32 v10, vcc_lo, s2, v14, vcc_lo
	v_and_or_b32 v1, 0x1ff, v5, v4
	v_cmp_eq_u32_e32 vcc_lo, 0x40f, v18
	v_lshrrev_b32_e32 v13, 8, v5
	v_bfe_u32 v14, v5, 20, 11
	global_store_dword v[9:10], v21, off
	v_cndmask_b32_e32 v4, v11, v16, vcc_lo
	v_cmp_ne_u32_e32 vcc_lo, 0, v1
	v_and_b32_e32 v11, 7, v17
	v_lshrrev_b32_e32 v16, 16, v3
	v_lshrrev_b32_e32 v17, 2, v17
	v_and_or_b32 v4, 0x8000, v12, v4
	v_cndmask_b32_e64 v1, 0, 1, vcc_lo
	v_cmp_lt_i32_e32 vcc_lo, 5, v11
	v_cmp_eq_u32_e64 s0, 3, v11
	v_sub_nc_u32_e32 v11, 0x3f1, v14
	v_add_nc_u32_e32 v14, 0xfffffc10, v14
	v_mul_f64 v[6:7], v[6:7], s[6:7]
	v_and_or_b32 v1, 0xffe, v13, v1
	v_mul_f16_sdwa v13, v129, v16 dst_sel:DWORD dst_unused:UNUSED_PAD src0_sel:WORD_1 src1_sel:DWORD
	s_or_b32 vcc_lo, s0, vcc_lo
	v_med3_i32 v11, v11, 0, 13
	v_add_co_ci_u32_e32 v17, vcc_lo, 0, v17, vcc_lo
	v_or_b32_e32 v18, 0x1000, v1
	v_cmp_ne_u32_e32 vcc_lo, 0, v19
	v_fmac_f16_e32 v13, v129, v3
	v_and_b32_e32 v4, 0xffff, v4
	v_mul_f16_sdwa v3, v129, v3 dst_sel:DWORD dst_unused:UNUSED_PAD src0_sel:WORD_1 src1_sel:DWORD
	v_lshrrev_b32_e32 v20, v11, v18
	v_cndmask_b32_e64 v19, 0, 1, vcc_lo
	v_cmp_gt_i32_e32 vcc_lo, 31, v15
	v_cvt_f32_f16_e32 v13, v13
	v_fma_f16 v3, v129, v16, -v3
	v_lshlrev_b32_e32 v22, v11, v20
	v_lshl_or_b32 v19, v19, 9, 0x7c00
	v_cndmask_b32_e32 v17, 0x7c00, v17, vcc_lo
	v_cmp_eq_u32_e32 vcc_lo, 0x40f, v15
	v_cvt_f64_f32_e32 v[11:12], v13
	v_and_or_b32 v6, 0x1ff, v7, v6
	v_cvt_f32_f16_e32 v3, v3
	v_cndmask_b32_e32 v13, v17, v19, vcc_lo
	v_cmp_ne_u32_e32 vcc_lo, v22, v18
	v_lshrrev_b32_e32 v17, 8, v7
	v_bfe_u32 v18, v7, 20, 11
	v_lshrrev_b32_e32 v7, 16, v7
	v_and_or_b32 v8, 0x8000, v8, v13
	v_cndmask_b32_e64 v15, 0, 1, vcc_lo
	v_cmp_ne_u32_e32 vcc_lo, 0, v6
	v_lshl_or_b32 v4, v8, 16, v4
	v_or_b32_e32 v13, v20, v15
	v_lshl_or_b32 v15, v14, 12, v1
	v_cndmask_b32_e64 v6, 0, 1, vcc_lo
	v_cmp_gt_i32_e32 vcc_lo, 1, v14
	v_mul_f64 v[11:12], v[11:12], s[6:7]
	v_cndmask_b32_e32 v13, v15, v13, vcc_lo
	v_and_or_b32 v15, 0xffe, v17, v6
	v_sub_nc_u32_e32 v6, 0x3f1, v18
	v_add_co_u32 v8, vcc_lo, v9, s5
	v_and_b32_e32 v17, 7, v13
	v_or_b32_e32 v19, 0x1000, v15
	v_med3_i32 v6, v6, 0, 13
	v_add_co_ci_u32_e32 v9, vcc_lo, s4, v10, vcc_lo
	v_cmp_lt_i32_e32 vcc_lo, 5, v17
	v_cmp_eq_u32_e64 s0, 3, v17
	v_lshrrev_b32_e32 v10, v6, v19
	global_store_dword v[8:9], v4, off
	v_lshrrev_b32_e32 v4, 2, v13
	v_add_nc_u32_e32 v13, 0xfffffc10, v18
	s_or_b32 vcc_lo, s0, vcc_lo
	v_lshlrev_b32_e32 v6, v6, v10
	v_add_co_ci_u32_e32 v4, vcc_lo, 0, v4, vcc_lo
	v_and_or_b32 v11, 0x1ff, v12, v11
	v_cmp_ne_u32_e32 vcc_lo, v6, v19
	v_lshrrev_b32_e32 v17, 8, v12
	v_bfe_u32 v18, v12, 20, 11
	v_lshrrev_b32_e32 v12, 16, v12
	v_cndmask_b32_e64 v6, 0, 1, vcc_lo
	v_cmp_gt_i32_e32 vcc_lo, 31, v14
	v_or_b32_e32 v6, v10, v6
	v_cndmask_b32_e32 v16, 0x7c00, v4, vcc_lo
	v_cmp_ne_u32_e32 vcc_lo, 0, v11
	v_cvt_f64_f32_e32 v[3:4], v3
	v_lshl_or_b32 v10, v13, 12, v15
	v_cndmask_b32_e64 v11, 0, 1, vcc_lo
	v_cmp_ne_u32_e32 vcc_lo, 0, v1
	v_cndmask_b32_e64 v1, 0, 1, vcc_lo
	v_cmp_gt_i32_e32 vcc_lo, 1, v13
	v_lshl_or_b32 v1, v1, 9, 0x7c00
	v_cndmask_b32_e32 v6, v10, v6, vcc_lo
	v_and_or_b32 v10, 0xffe, v17, v11
	v_sub_nc_u32_e32 v11, 0x3f1, v18
	v_cmp_eq_u32_e32 vcc_lo, 0x40f, v14
	v_lshrrev_b32_e32 v17, 16, v0
	v_and_b32_e32 v19, 7, v6
	v_or_b32_e32 v20, 0x1000, v10
	v_med3_i32 v11, v11, 0, 13
	v_cndmask_b32_e32 v1, v16, v1, vcc_lo
	v_lshrrev_b32_e32 v16, 16, v5
	v_cmp_lt_i32_e32 vcc_lo, 5, v19
	v_cmp_eq_u32_e64 s0, 3, v19
	v_lshrrev_b32_e32 v5, 2, v6
	v_lshrrev_b32_e32 v14, v11, v20
	v_mul_f16_sdwa v21, v128, v17 dst_sel:DWORD dst_unused:UNUSED_PAD src0_sel:WORD_1 src1_sel:DWORD
	v_mul_f64 v[3:4], v[3:4], s[6:7]
	s_or_b32 vcc_lo, s0, vcc_lo
	v_add_nc_u32_e32 v18, 0xfffffc10, v18
	v_add_co_ci_u32_e32 v19, vcc_lo, 0, v5, vcc_lo
	v_lshlrev_b32_e32 v11, v11, v14
	v_cmp_ne_u32_e32 vcc_lo, 0, v15
	v_fmac_f16_e32 v21, v128, v0
	v_and_or_b32 v1, 0x8000, v16, v1
	v_mul_f16_sdwa v0, v128, v0 dst_sel:DWORD dst_unused:UNUSED_PAD src0_sel:WORD_1 src1_sel:DWORD
	v_cndmask_b32_e64 v15, 0, 1, vcc_lo
	v_cmp_ne_u32_e32 vcc_lo, v11, v20
	v_cvt_f32_f16_e32 v6, v21
	v_and_b32_e32 v1, 0xffff, v1
	v_fma_f16 v0, v128, v17, -v0
	v_lshl_or_b32 v15, v15, 9, 0x7c00
	v_cndmask_b32_e64 v11, 0, 1, vcc_lo
	v_cmp_gt_i32_e32 vcc_lo, 31, v13
	v_cvt_f64_f32_e32 v[5:6], v6
	v_cvt_f32_f16_e32 v0, v0
	v_lshrrev_b32_e32 v20, 16, v2
	v_or_b32_e32 v11, v14, v11
	v_cndmask_b32_e32 v19, 0x7c00, v19, vcc_lo
	v_cmp_eq_u32_e32 vcc_lo, 0x40f, v13
	v_lshl_or_b32 v14, v18, 12, v10
	v_and_or_b32 v3, 0x1ff, v4, v3
	v_cndmask_b32_e32 v13, v19, v15, vcc_lo
	v_cmp_gt_i32_e32 vcc_lo, 1, v18
	v_bfe_u32 v15, v4, 20, 11
	v_and_or_b32 v7, 0x8000, v7, v13
	v_cndmask_b32_e32 v11, v14, v11, vcc_lo
	v_cmp_ne_u32_e32 vcc_lo, 0, v3
	v_lshrrev_b32_e32 v14, 8, v4
	v_lshl_or_b32 v17, v7, 16, v1
	v_and_b32_e32 v19, 7, v11
	v_cndmask_b32_e64 v3, 0, 1, vcc_lo
	v_mul_f64 v[5:6], v[5:6], s[6:7]
	v_lshrrev_b32_e32 v11, 2, v11
	v_cmp_lt_i32_e32 vcc_lo, 5, v19
	v_and_or_b32 v3, 0xffe, v14, v3
	v_sub_nc_u32_e32 v14, 0x3f1, v15
	v_cmp_eq_u32_e64 s0, 3, v19
	v_or_b32_e32 v13, 0x1000, v3
	v_med3_i32 v14, v14, 0, 13
	s_or_b32 vcc_lo, s0, vcc_lo
	v_add_co_ci_u32_e32 v11, vcc_lo, 0, v11, vcc_lo
	v_lshrrev_b32_e32 v16, v14, v13
	v_cmp_gt_i32_e32 vcc_lo, 31, v18
	v_lshlrev_b32_e32 v1, v14, v16
	v_cndmask_b32_e32 v7, 0x7c00, v11, vcc_lo
	v_and_or_b32 v5, 0x1ff, v6, v5
	v_lshrrev_b32_e32 v14, 8, v6
	v_cmp_ne_u32_e32 vcc_lo, v1, v13
	v_cvt_f64_f32_e32 v[0:1], v0
	v_add_nc_u32_e32 v13, 0xfffffc10, v15
	v_bfe_u32 v15, v6, 20, 11
	v_cndmask_b32_e64 v11, 0, 1, vcc_lo
	v_cmp_ne_u32_e32 vcc_lo, 0, v5
	v_or_b32_e32 v11, v16, v11
	v_cndmask_b32_e64 v5, 0, 1, vcc_lo
	v_cmp_ne_u32_e32 vcc_lo, 0, v10
	v_lshl_or_b32 v16, v13, 12, v3
	v_and_or_b32 v5, 0xffe, v14, v5
	v_cndmask_b32_e64 v10, 0, 1, vcc_lo
	v_sub_nc_u32_e32 v14, 0x3f1, v15
	v_cmp_gt_i32_e32 vcc_lo, 1, v13
	v_lshl_or_b32 v10, v10, 9, 0x7c00
	v_med3_i32 v14, v14, 0, 13
	v_cndmask_b32_e32 v11, v16, v11, vcc_lo
	v_or_b32_e32 v16, 0x1000, v5
	v_cmp_eq_u32_e32 vcc_lo, 0x40f, v18
	v_mul_f64 v[0:1], v[0:1], s[6:7]
	v_and_b32_e32 v18, 7, v11
	v_lshrrev_b32_e32 v19, v14, v16
	v_cndmask_b32_e32 v10, v7, v10, vcc_lo
	v_add_co_u32 v7, vcc_lo, v8, s3
	v_add_co_ci_u32_e32 v8, vcc_lo, s2, v9, vcc_lo
	v_and_or_b32 v12, 0x8000, v12, v10
	v_lshlrev_b32_e32 v10, v14, v19
	v_mul_f16_sdwa v9, v127, v20 dst_sel:DWORD dst_unused:UNUSED_PAD src0_sel:WORD_1 src1_sel:DWORD
	v_cmp_lt_i32_e32 vcc_lo, 5, v18
	v_cmp_eq_u32_e64 s0, 3, v18
	v_lshrrev_b32_e32 v11, 2, v11
	v_cmp_ne_u32_e64 s1, v10, v16
	v_fmac_f16_e32 v9, v127, v2
	v_add_nc_u32_e32 v14, 0xfffffc10, v15
	s_or_b32 vcc_lo, s0, vcc_lo
	v_and_b32_e32 v12, 0xffff, v12
	v_add_co_ci_u32_e32 v11, vcc_lo, 0, v11, vcc_lo
	v_cndmask_b32_e64 v10, 0, 1, s1
	v_cmp_ne_u32_e32 vcc_lo, 0, v3
	v_cvt_f32_f16_e32 v9, v9
	v_lshl_or_b32 v16, v14, 12, v5
	v_and_or_b32 v0, 0x1ff, v1, v0
	v_or_b32_e32 v15, v19, v10
	v_cndmask_b32_e64 v3, 0, 1, vcc_lo
	v_cmp_gt_i32_e32 vcc_lo, 1, v14
	v_cvt_f64_f32_e32 v[9:10], v9
	v_bfe_u32 v18, v1, 20, 11
	v_mul_f16_sdwa v2, v127, v2 dst_sel:DWORD dst_unused:UNUSED_PAD src0_sel:WORD_1 src1_sel:DWORD
	v_lshl_or_b32 v3, v3, 9, 0x7c00
	v_cndmask_b32_e32 v15, v16, v15, vcc_lo
	v_cmp_ne_u32_e32 vcc_lo, 0, v0
	v_lshrrev_b32_e32 v16, 8, v1
	v_fma_f16 v2, v127, v20, -v2
	v_and_b32_e32 v19, 7, v15
	v_cndmask_b32_e64 v0, 0, 1, vcc_lo
	v_cmp_gt_i32_e32 vcc_lo, 31, v13
	v_cvt_f32_f16_e32 v2, v2
	v_cmp_eq_u32_e64 s0, 3, v19
	v_and_or_b32 v0, 0xffe, v16, v0
	v_cndmask_b32_e32 v11, 0x7c00, v11, vcc_lo
	v_cmp_eq_u32_e32 vcc_lo, 0x40f, v13
	v_lshrrev_b32_e32 v16, 16, v4
	v_sub_nc_u32_e32 v13, 0x3f1, v18
	v_or_b32_e32 v21, 0x1000, v0
	v_cndmask_b32_e32 v11, v11, v3, vcc_lo
	v_cmp_lt_i32_e32 vcc_lo, 5, v19
	v_mul_f64 v[3:4], v[9:10], s[6:7]
	v_med3_i32 v9, v13, 0, 13
	v_and_or_b32 v10, 0x8000, v16, v11
	v_lshrrev_b32_e32 v11, 2, v15
	s_or_b32 vcc_lo, s0, vcc_lo
	v_lshrrev_b32_e32 v13, v9, v21
	v_add_nc_u32_e32 v15, 0xfffffc10, v18
	v_lshl_or_b32 v12, v10, 16, v12
	v_add_co_ci_u32_e32 v11, vcc_lo, 0, v11, vcc_lo
	v_cmp_ne_u32_e32 vcc_lo, 0, v5
	v_lshlrev_b32_e32 v9, v9, v13
	v_lshrrev_b32_e32 v18, 16, v6
	v_cndmask_b32_e64 v5, 0, 1, vcc_lo
	v_cmp_gt_i32_e32 vcc_lo, 31, v14
	v_lshl_or_b32 v5, v5, 9, 0x7c00
	v_cndmask_b32_e32 v10, 0x7c00, v11, vcc_lo
	v_cmp_ne_u32_e32 vcc_lo, v9, v21
	ds_read_b32 v11, v125 offset:6552
	v_and_or_b32 v3, 0x1ff, v4, v3
	v_bfe_u32 v16, v4, 20, 11
	v_cndmask_b32_e64 v9, 0, 1, vcc_lo
	v_cmp_eq_u32_e32 vcc_lo, 0x40f, v14
	v_lshrrev_b32_e32 v14, 8, v4
	v_lshrrev_b32_e32 v4, 16, v4
	v_cndmask_b32_e32 v10, v10, v5, vcc_lo
	v_cmp_ne_u32_e32 vcc_lo, 0, v3
	v_or_b32_e32 v5, v13, v9
	v_lshl_or_b32 v9, v15, 12, v0
	v_cvt_f64_f32_e32 v[2:3], v2
	v_and_or_b32 v18, 0x8000, v18, v10
	v_cndmask_b32_e64 v13, 0, 1, vcc_lo
	v_cmp_gt_i32_e32 vcc_lo, 1, v15
	v_and_or_b32 v13, 0xffe, v14, v13
	v_cndmask_b32_e32 v9, v9, v5, vcc_lo
	v_sub_nc_u32_e32 v5, 0x3f1, v16
	s_waitcnt lgkmcnt(0)
	v_lshrrev_b32_e32 v14, 16, v11
	v_add_nc_u32_e32 v16, 0xfffffc10, v16
	v_or_b32_e32 v20, 0x1000, v13
	v_and_b32_e32 v19, 7, v9
	v_med3_i32 v21, v5, 0, 13
	v_mul_f16_sdwa v22, v126, v14 dst_sel:DWORD dst_unused:UNUSED_PAD src0_sel:WORD_1 src1_sel:DWORD
	v_add_co_u32 v5, vcc_lo, v7, s3
	v_add_co_ci_u32_e32 v6, vcc_lo, s2, v8, vcc_lo
	v_lshrrev_b32_e32 v23, v21, v20
	v_fmac_f16_e32 v22, v126, v11
	v_cmp_lt_i32_e32 vcc_lo, 5, v19
	v_cmp_eq_u32_e64 s0, 3, v19
	v_lshrrev_b32_e32 v9, 2, v9
	v_lshlrev_b32_e32 v19, v21, v23
	v_cvt_f32_f16_e32 v10, v22
	v_mul_f64 v[2:3], v[2:3], s[6:7]
	s_or_b32 vcc_lo, s0, vcc_lo
	v_mul_f16_sdwa v11, v126, v11 dst_sel:DWORD dst_unused:UNUSED_PAD src0_sel:WORD_1 src1_sel:DWORD
	v_add_co_ci_u32_e32 v21, vcc_lo, 0, v9, vcc_lo
	v_cmp_ne_u32_e32 vcc_lo, v19, v20
	v_cvt_f64_f32_e32 v[9:10], v10
	v_lshl_or_b32 v20, v16, 12, v13
	v_fma_f16 v11, v126, v14, -v11
	v_cndmask_b32_e64 v19, 0, 1, vcc_lo
	v_cmp_ne_u32_e32 vcc_lo, 0, v0
	v_cvt_f32_f16_e32 v11, v11
	v_or_b32_e32 v19, v23, v19
	v_cndmask_b32_e64 v0, 0, 1, vcc_lo
	v_cmp_gt_i32_e32 vcc_lo, 31, v15
	v_lshl_or_b32 v0, v0, 9, 0x7c00
	v_cndmask_b32_e32 v14, 0x7c00, v21, vcc_lo
	v_cmp_gt_i32_e32 vcc_lo, 1, v16
	v_and_or_b32 v2, 0x1ff, v3, v2
	v_bfe_u32 v21, v3, 20, 11
	v_cndmask_b32_e32 v19, v20, v19, vcc_lo
	v_cmp_eq_u32_e32 vcc_lo, 0x40f, v15
	v_mul_f64 v[9:10], v[9:10], s[6:7]
	v_lshrrev_b32_e32 v15, 16, v1
	v_lshrrev_b32_e32 v20, 8, v3
	;; [unrolled: 1-line block ×3, first 2 shown]
	v_cndmask_b32_e32 v14, v14, v0, vcc_lo
	v_cvt_f64_f32_e32 v[0:1], v11
	v_cmp_ne_u32_e32 vcc_lo, 0, v2
	v_and_b32_e32 v11, 7, v19
	v_and_or_b32 v14, 0x8000, v15, v14
	v_and_b32_e32 v15, 0xffff, v18
	v_cndmask_b32_e64 v2, 0, 1, vcc_lo
	v_cmp_lt_i32_e32 vcc_lo, 5, v11
	v_cmp_eq_u32_e64 s0, 3, v11
	v_sub_nc_u32_e32 v18, 0x3f1, v21
	v_lshl_or_b32 v11, v14, 16, v15
	v_lshrrev_b32_e32 v14, 2, v19
	v_and_or_b32 v2, 0xffe, v20, v2
	s_or_b32 vcc_lo, s0, vcc_lo
	v_med3_i32 v18, v18, 0, 13
	v_add_co_ci_u32_e32 v14, vcc_lo, 0, v14, vcc_lo
	v_or_b32_e32 v15, 0x1000, v2
	v_cmp_ne_u32_e32 vcc_lo, 0, v13
	v_and_or_b32 v9, 0x1ff, v10, v9
	v_lshrrev_b32_e32 v20, 8, v10
	v_mul_f64 v[0:1], v[0:1], s[6:7]
	v_lshrrev_b32_e32 v19, v18, v15
	v_cndmask_b32_e64 v13, 0, 1, vcc_lo
	v_cmp_gt_i32_e32 vcc_lo, 31, v16
	v_bfe_u32 v22, v10, 20, 11
	v_lshrrev_b32_e32 v10, 16, v10
	v_lshlrev_b32_e32 v18, v18, v19
	v_lshl_or_b32 v13, v13, 9, 0x7c00
	v_cndmask_b32_e32 v14, 0x7c00, v14, vcc_lo
	v_cmp_ne_u32_e32 vcc_lo, 0, v9
	v_cndmask_b32_e64 v9, 0, 1, vcc_lo
	v_cmp_ne_u32_e32 vcc_lo, v18, v15
	v_add_nc_u32_e32 v18, 0xfffffc10, v21
	v_and_or_b32 v9, 0xffe, v20, v9
	v_cndmask_b32_e64 v15, 0, 1, vcc_lo
	v_sub_nc_u32_e32 v20, 0x3f1, v22
	v_cmp_eq_u32_e32 vcc_lo, 0x40f, v16
	v_and_or_b32 v0, 0x1ff, v1, v0
	v_or_b32_e32 v16, 0x1000, v9
	v_bfe_u32 v21, v1, 20, 11
	v_cndmask_b32_e32 v13, v14, v13, vcc_lo
	v_or_b32_e32 v14, v19, v15
	v_lshl_or_b32 v15, v18, 12, v2
	v_med3_i32 v19, v20, 0, 13
	v_cmp_gt_i32_e32 vcc_lo, 1, v18
	v_lshrrev_b32_e32 v20, 8, v1
	v_and_or_b32 v4, 0x8000, v4, v13
	v_sub_nc_u32_e32 v13, 0x3f1, v21
	v_cndmask_b32_e32 v14, v15, v14, vcc_lo
	v_lshrrev_b32_e32 v15, v19, v16
	v_cmp_ne_u32_e32 vcc_lo, 0, v0
	v_med3_i32 v13, v13, 0, 13
	v_and_b32_e32 v23, 7, v14
	v_lshlrev_b32_e32 v19, v19, v15
	v_cndmask_b32_e64 v0, 0, 1, vcc_lo
	v_lshrrev_b32_e32 v14, 2, v14
	v_cmp_lt_i32_e32 vcc_lo, 5, v23
	v_cmp_ne_u32_e64 s0, v19, v16
	v_and_or_b32 v0, 0xffe, v20, v0
	v_add_nc_u32_e32 v20, 0xfffffc10, v22
	v_cndmask_b32_e64 v16, 0, 1, s0
	v_cmp_eq_u32_e64 s0, 3, v23
	v_or_b32_e32 v19, 0x1000, v0
	v_lshl_or_b32 v22, v20, 12, v9
	v_or_b32_e32 v15, v15, v16
	s_or_b32 vcc_lo, s0, vcc_lo
	v_lshrrev_b32_e32 v16, v13, v19
	v_add_co_ci_u32_e32 v14, vcc_lo, 0, v14, vcc_lo
	v_cmp_gt_i32_e32 vcc_lo, 1, v20
	v_lshlrev_b32_e32 v13, v13, v16
	v_cndmask_b32_e32 v15, v22, v15, vcc_lo
	v_cmp_ne_u32_e32 vcc_lo, 0, v2
	v_cndmask_b32_e64 v2, 0, 1, vcc_lo
	v_cmp_ne_u32_e32 vcc_lo, v13, v19
	v_add_nc_u32_e32 v19, 0xfffffc10, v21
	v_and_b32_e32 v21, 7, v15
	v_lshl_or_b32 v2, v2, 9, 0x7c00
	v_cndmask_b32_e64 v13, 0, 1, vcc_lo
	v_cmp_gt_i32_e32 vcc_lo, 31, v18
	v_cmp_gt_i32_e64 s1, 1, v19
	v_cmp_eq_u32_e64 s0, 3, v21
	v_or_b32_e32 v13, v16, v13
	v_lshl_or_b32 v16, v19, 12, v0
	v_cndmask_b32_e32 v14, 0x7c00, v14, vcc_lo
	v_cmp_lt_i32_e32 vcc_lo, 5, v21
	v_cndmask_b32_e64 v13, v16, v13, s1
	v_cmp_eq_u32_e64 s1, 0x40f, v18
	s_or_b32 vcc_lo, s0, vcc_lo
	v_cndmask_b32_e64 v2, v14, v2, s1
	v_lshrrev_b32_e32 v14, 2, v15
	v_and_b32_e32 v15, 7, v13
	v_lshrrev_b32_e32 v13, 2, v13
	v_cmp_gt_i32_e64 s1, 31, v20
	v_and_or_b32 v2, 0x8000, v3, v2
	v_add_co_ci_u32_e32 v14, vcc_lo, 0, v14, vcc_lo
	v_cmp_ne_u32_e32 vcc_lo, 0, v9
	v_cmp_eq_u32_e64 s0, 3, v15
	v_and_b32_e32 v3, 0xffff, v4
	v_cndmask_b32_e64 v14, 0x7c00, v14, s1
	v_cndmask_b32_e64 v9, 0, 1, vcc_lo
	v_cmp_lt_i32_e32 vcc_lo, 5, v15
	v_lshl_or_b32 v9, v9, 9, 0x7c00
	s_or_b32 vcc_lo, s0, vcc_lo
	v_add_co_ci_u32_e32 v13, vcc_lo, 0, v13, vcc_lo
	v_cmp_ne_u32_e32 vcc_lo, 0, v0
	v_cndmask_b32_e64 v0, 0, 1, vcc_lo
	v_cmp_eq_u32_e32 vcc_lo, 0x40f, v20
	v_lshl_or_b32 v0, v0, 9, 0x7c00
	v_cndmask_b32_e32 v9, v14, v9, vcc_lo
	v_cmp_gt_i32_e32 vcc_lo, 31, v19
	v_and_or_b32 v4, 0x8000, v10, v9
	v_cndmask_b32_e32 v13, 0x7c00, v13, vcc_lo
	v_cmp_eq_u32_e32 vcc_lo, 0x40f, v19
	v_lshrrev_b32_e32 v10, 16, v1
	v_and_b32_e32 v4, 0xffff, v4
	v_cndmask_b32_e32 v9, v13, v0, vcc_lo
	v_add_co_u32 v0, vcc_lo, v5, s5
	v_add_co_ci_u32_e32 v1, vcc_lo, s4, v6, vcc_lo
	v_lshl_or_b32 v13, v2, 16, v3
	v_and_or_b32 v9, 0x8000, v10, v9
	v_add_co_u32 v2, vcc_lo, v0, s3
	v_add_co_ci_u32_e32 v3, vcc_lo, s2, v1, vcc_lo
	v_lshl_or_b32 v4, v9, 16, v4
	v_add_co_u32 v9, vcc_lo, v2, s3
	v_add_co_ci_u32_e32 v10, vcc_lo, s2, v3, vcc_lo
	global_store_dword v[7:8], v17, off
	global_store_dword v[5:6], v12, off
	;; [unrolled: 1-line block ×5, first 2 shown]
.LBB0_10:
	s_endpgm
	.section	.rodata,"a",@progbits
	.p2align	6, 0x0
	.amdhsa_kernel bluestein_single_back_len1701_dim1_half_op_CI_CI
		.amdhsa_group_segment_fixed_size 6804
		.amdhsa_private_segment_fixed_size 0
		.amdhsa_kernarg_size 104
		.amdhsa_user_sgpr_count 6
		.amdhsa_user_sgpr_private_segment_buffer 1
		.amdhsa_user_sgpr_dispatch_ptr 0
		.amdhsa_user_sgpr_queue_ptr 0
		.amdhsa_user_sgpr_kernarg_segment_ptr 1
		.amdhsa_user_sgpr_dispatch_id 0
		.amdhsa_user_sgpr_flat_scratch_init 0
		.amdhsa_user_sgpr_private_segment_size 0
		.amdhsa_wavefront_size32 1
		.amdhsa_uses_dynamic_stack 0
		.amdhsa_system_sgpr_private_segment_wavefront_offset 0
		.amdhsa_system_sgpr_workgroup_id_x 1
		.amdhsa_system_sgpr_workgroup_id_y 0
		.amdhsa_system_sgpr_workgroup_id_z 0
		.amdhsa_system_sgpr_workgroup_info 0
		.amdhsa_system_vgpr_workitem_id 0
		.amdhsa_next_free_vgpr 253
		.amdhsa_next_free_sgpr 20
		.amdhsa_reserve_vcc 1
		.amdhsa_reserve_flat_scratch 0
		.amdhsa_float_round_mode_32 0
		.amdhsa_float_round_mode_16_64 0
		.amdhsa_float_denorm_mode_32 3
		.amdhsa_float_denorm_mode_16_64 3
		.amdhsa_dx10_clamp 1
		.amdhsa_ieee_mode 1
		.amdhsa_fp16_overflow 0
		.amdhsa_workgroup_processor_mode 1
		.amdhsa_memory_ordered 1
		.amdhsa_forward_progress 0
		.amdhsa_shared_vgpr_count 0
		.amdhsa_exception_fp_ieee_invalid_op 0
		.amdhsa_exception_fp_denorm_src 0
		.amdhsa_exception_fp_ieee_div_zero 0
		.amdhsa_exception_fp_ieee_overflow 0
		.amdhsa_exception_fp_ieee_underflow 0
		.amdhsa_exception_fp_ieee_inexact 0
		.amdhsa_exception_int_div_zero 0
	.end_amdhsa_kernel
	.text
.Lfunc_end0:
	.size	bluestein_single_back_len1701_dim1_half_op_CI_CI, .Lfunc_end0-bluestein_single_back_len1701_dim1_half_op_CI_CI
                                        ; -- End function
	.section	.AMDGPU.csdata,"",@progbits
; Kernel info:
; codeLenInByte = 45840
; NumSgprs: 22
; NumVgprs: 253
; ScratchSize: 0
; MemoryBound: 0
; FloatMode: 240
; IeeeMode: 1
; LDSByteSize: 6804 bytes/workgroup (compile time only)
; SGPRBlocks: 2
; VGPRBlocks: 31
; NumSGPRsForWavesPerEU: 22
; NumVGPRsForWavesPerEU: 253
; Occupancy: 4
; WaveLimiterHint : 1
; COMPUTE_PGM_RSRC2:SCRATCH_EN: 0
; COMPUTE_PGM_RSRC2:USER_SGPR: 6
; COMPUTE_PGM_RSRC2:TRAP_HANDLER: 0
; COMPUTE_PGM_RSRC2:TGID_X_EN: 1
; COMPUTE_PGM_RSRC2:TGID_Y_EN: 0
; COMPUTE_PGM_RSRC2:TGID_Z_EN: 0
; COMPUTE_PGM_RSRC2:TIDIG_COMP_CNT: 0
	.text
	.p2alignl 6, 3214868480
	.fill 48, 4, 3214868480
	.type	__hip_cuid_2c5e0168dc7cf48d,@object ; @__hip_cuid_2c5e0168dc7cf48d
	.section	.bss,"aw",@nobits
	.globl	__hip_cuid_2c5e0168dc7cf48d
__hip_cuid_2c5e0168dc7cf48d:
	.byte	0                               ; 0x0
	.size	__hip_cuid_2c5e0168dc7cf48d, 1

	.ident	"AMD clang version 19.0.0git (https://github.com/RadeonOpenCompute/llvm-project roc-6.4.0 25133 c7fe45cf4b819c5991fe208aaa96edf142730f1d)"
	.section	".note.GNU-stack","",@progbits
	.addrsig
	.addrsig_sym __hip_cuid_2c5e0168dc7cf48d
	.amdgpu_metadata
---
amdhsa.kernels:
  - .args:
      - .actual_access:  read_only
        .address_space:  global
        .offset:         0
        .size:           8
        .value_kind:     global_buffer
      - .actual_access:  read_only
        .address_space:  global
        .offset:         8
        .size:           8
        .value_kind:     global_buffer
      - .actual_access:  read_only
        .address_space:  global
        .offset:         16
        .size:           8
        .value_kind:     global_buffer
      - .actual_access:  read_only
        .address_space:  global
        .offset:         24
        .size:           8
        .value_kind:     global_buffer
      - .actual_access:  read_only
        .address_space:  global
        .offset:         32
        .size:           8
        .value_kind:     global_buffer
      - .offset:         40
        .size:           8
        .value_kind:     by_value
      - .address_space:  global
        .offset:         48
        .size:           8
        .value_kind:     global_buffer
      - .address_space:  global
        .offset:         56
        .size:           8
        .value_kind:     global_buffer
      - .address_space:  global
        .offset:         64
        .size:           8
        .value_kind:     global_buffer
      - .address_space:  global
        .offset:         72
        .size:           8
        .value_kind:     global_buffer
      - .offset:         80
        .size:           4
        .value_kind:     by_value
      - .address_space:  global
        .offset:         88
        .size:           8
        .value_kind:     global_buffer
      - .address_space:  global
        .offset:         96
        .size:           8
        .value_kind:     global_buffer
    .group_segment_fixed_size: 6804
    .kernarg_segment_align: 8
    .kernarg_segment_size: 104
    .language:       OpenCL C
    .language_version:
      - 2
      - 0
    .max_flat_workgroup_size: 63
    .name:           bluestein_single_back_len1701_dim1_half_op_CI_CI
    .private_segment_fixed_size: 0
    .sgpr_count:     22
    .sgpr_spill_count: 0
    .symbol:         bluestein_single_back_len1701_dim1_half_op_CI_CI.kd
    .uniform_work_group_size: 1
    .uses_dynamic_stack: false
    .vgpr_count:     253
    .vgpr_spill_count: 0
    .wavefront_size: 32
    .workgroup_processor_mode: 1
amdhsa.target:   amdgcn-amd-amdhsa--gfx1030
amdhsa.version:
  - 1
  - 2
...

	.end_amdgpu_metadata
